;; amdgpu-corpus repo=ROCm/aiter kind=harvested arch=n/a opt=n/a

/root/src/amdgpu-assembly/repos/ROCm__aiter/hsa/gfx942/fmha_v3_bwd/bwd_hd64_bf16_a32_rtna_pssk_group.co:	file format elf64-amdgpu

Disassembly of section .text:

0000000000003e00 <_ZN5aiter38fmha_bwd_hd64_bf16_a32_rtna_pssk_groupE>:
	s_and_b32 s1, s1, 0xffff                                   // 000000003E00: 8601FF01 0000FFFF
	s_load_dwordx2 s[32:33], s[0:1], 0x0                       // 000000003E08: C0060800 00000000
	s_load_dwordx2 s[36:37], s[0:1], 0x10                      // 000000003E10: C0060900 00000010
	s_load_dwordx2 s[40:41], s[0:1], 0x20                      // 000000003E18: C0060A00 00000020
	s_load_dwordx2 s[8:9], s[0:1], 0x30                        // 000000003E20: C0060200 00000030
	s_load_dwordx2 s[12:13], s[0:1], 0x40                      // 000000003E28: C0060300 00000040
	s_load_dwordx2 s[16:17], s[0:1], 0x50                      // 000000003E30: C0060400 00000050
	s_load_dwordx2 s[20:21], s[0:1], 0x60                      // 000000003E38: C0060500 00000060
	s_load_dwordx2 s[24:25], s[0:1], 0x70                      // 000000003E40: C0060600 00000070
	s_load_dwordx2 s[28:29], s[0:1], 0x80                      // 000000003E48: C0060700 00000080
	s_load_dword s47, s[0:1], 0x90                             // 000000003E50: C0020BC0 00000090
	s_load_dword s48, s[0:1], 0xa0                             // 000000003E58: C0020C00 000000A0
	s_load_dword s75, s[0:1], 0xd0                             // 000000003E60: C00212C0 000000D0
	s_load_dword s5, s[0:1], 0xf0                              // 000000003E68: C0020140 000000F0
	s_load_dword s44, s[0:1], 0x100                            // 000000003E70: C0020B00 00000100
	s_load_dword s76, s[0:1], 0x110                            // 000000003E78: C0021300 00000110
	s_load_dword s6, s[0:1], 0x130                             // 000000003E80: C0020180 00000130
	s_load_dword s52, s[0:1], 0x140                            // 000000003E88: C0020D00 00000140
	s_load_dword s77, s[0:1], 0x190                            // 000000003E90: C0021340 00000190
	s_load_dword s7, s[0:1], 0x1b0                             // 000000003E98: C00201C0 000001B0
	s_load_dword s78, s[0:1], 0x1c0                            // 000000003EA0: C0021380 000001C0
	s_load_dword s51, s[0:1], 0x1e0                            // 000000003EA8: C0020CC0 000001E0
	s_load_dword s79, s[0:1], 0x1f0                            // 000000003EB0: C00213C0 000001F0
	s_load_dword s80, s[0:1], 0x210                            // 000000003EB8: C0021400 00000210
	s_load_dword s53, s[0:1], 0x230                            // 000000003EC0: C0020D40 00000230
	s_load_dword s49, s[0:1], 0x240                            // 000000003EC8: C0020C40 00000240
	s_load_dwordx2 s[88:89], s[0:1], 0x250                     // 000000003ED0: C0061600 00000250
	s_load_dwordx2 s[92:93], s[0:1], 0x260                     // 000000003ED8: C0061700 00000260
	s_load_dwordx2 s[96:97], s[0:1], 0x270                     // 000000003EE0: C0061800 00000270
	s_load_dwordx2 s[100:101], s[0:1], 0x280                   // 000000003EE8: C0061900 00000280
	v_lshrrev_b32_e32 v1, 10, v0                               // 000000003EF0: 2002008A
	v_lshrrev_b32_e32 v2, 10, v1                               // 000000003EF4: 2004028A
	v_and_b32_e32 v2, 0x3ff, v2                                // 000000003EF8: 260404FF 000003FF
	v_and_b32_e32 v1, 0x3ff, v1                                // 000000003F00: 260202FF 000003FF
	v_and_b32_e32 v0, 0x3ff, v0                                // 000000003F08: 260000FF 000003FF
	v_lshrrev_b32_e32 v3, 6, v0                                // 000000003F10: 20060086
	v_and_b32_e32 v0, 63, v0                                   // 000000003F14: 260000BF
	s_mov_b32 s2, s2                                           // 000000003F18: BE820002
	s_mov_b32 s3, s3                                           // 000000003F1C: BE830003
	s_mov_b32 s4, s4                                           // 000000003F20: BE840004
	v_readfirstlane_b32 s46, v3                                // 000000003F24: 7E5C0503
	s_waitcnt lgkmcnt(0)                                       // 000000003F28: BF8CC07F
	s_mul_i32 s60, s4, 4                                       // 000000003F2C: 923C8404
	s_add_u32 s88, s60, s88                                    // 000000003F30: 8058583C
	s_addc_u32 s89, 0, s89                                     // 000000003F34: 82595980
	s_load_dwordx2 s[82:83], s[88:89], 0x0                     // 000000003F38: C00614AC 00000000
	s_add_u32 s96, s60, s96                                    // 000000003F40: 8060603C
	s_addc_u32 s97, 0, s97                                     // 000000003F44: 82616180
	s_load_dword s86, s[96:97], 0x0                            // 000000003F48: C00215B0 00000000
	s_add_u32 s92, s60, s92                                    // 000000003F50: 805C5C3C
	s_addc_u32 s93, 0, s93                                     // 000000003F54: 825D5D80
	s_load_dwordx2 s[84:85], s[92:93], 0x0                     // 000000003F58: C006152E 00000000
	s_add_u32 s100, s60, s100                                  // 000000003F60: 8064643C
	s_addc_u32 s101, 0, s101                                   // 000000003F64: 82656580
	s_load_dword s87, s[100:101], 0x0                          // 000000003F68: C00215F2 00000000
	s_mov_b32 s11, 0x20000                                     // 000000003F70: BE8B00FF 00020000
	s_mov_b32 s15, 0x20000                                     // 000000003F78: BE8F00FF 00020000
	s_mov_b32 s19, 0x20000                                     // 000000003F80: BE9300FF 00020000
	s_mov_b32 s23, 0x20000                                     // 000000003F88: BE9700FF 00020000
	s_mov_b32 s27, 0x20000                                     // 000000003F90: BE9B00FF 00020000
	s_mov_b32 s31, 0x20000                                     // 000000003F98: BE9F00FF 00020000
	s_mov_b32 s35, 0x20000                                     // 000000003FA0: BEA300FF 00020000
	s_mov_b32 s39, 0x20000                                     // 000000003FA8: BEA700FF 00020000
	s_mov_b32 s43, 0x20000                                     // 000000003FB0: BEAB00FF 00020000
	s_and_b32 s9, s9, 0xffff                                   // 000000003FB8: 8609FF09 0000FFFF
	s_and_b32 s13, s13, 0xffff                                 // 000000003FC0: 860DFF0D 0000FFFF
	s_and_b32 s17, s17, 0xffff                                 // 000000003FC8: 8611FF11 0000FFFF
	s_and_b32 s21, s21, 0xffff                                 // 000000003FD0: 8615FF15 0000FFFF
	s_and_b32 s25, s25, 0xffff                                 // 000000003FD8: 8619FF19 0000FFFF
	s_and_b32 s29, s29, 0xffff                                 // 000000003FE0: 861DFF1D 0000FFFF
	s_and_b32 s33, s33, 0xffff                                 // 000000003FE8: 8621FF21 0000FFFF
	s_and_b32 s37, s37, 0xffff                                 // 000000003FF0: 8625FF25 0000FFFF
	s_and_b32 s41, s41, 0xffff                                 // 000000003FF8: 8629FF29 0000FFFF
	s_or_b32 s9, s9, 0x40000                                   // 000000004000: 8709FF09 00040000
	s_or_b32 s13, s13, 0x40000                                 // 000000004008: 870DFF0D 00040000
	s_or_b32 s17, s17, 0x40000                                 // 000000004010: 8711FF11 00040000
	s_or_b32 s21, s21, 0x40000                                 // 000000004018: 8715FF15 00040000
	s_or_b32 s25, s25, 0x40000                                 // 000000004020: 8719FF19 00040000
	s_or_b32 s29, s29, 0x40000                                 // 000000004028: 871DFF1D 00040000
	s_or_b32 s33, s33, 0x40000                                 // 000000004030: 8721FF21 00040000
	s_or_b32 s37, s37, 0x40000                                 // 000000004038: 8725FF25 00040000
	s_or_b32 s41, s41, 0x40000                                 // 000000004040: 8729FF29 00040000
	s_waitcnt lgkmcnt(0)                                       // 000000004048: BF8CC07F
	s_mul_i32 s61, s2, 0xc0                                    // 00000000404C: 923DFF02 000000C0
	s_sub_i32 s85, s85, s84                                    // 000000004054: 81D55455
	s_mov_b32 s84, s87                                         // 000000004058: BED40057
	s_sub_i32 s83, s83, s82                                    // 00000000405C: 81D35253
	s_mov_b32 s82, s86                                         // 000000004060: BED20056
	s_cmp_gt_i32 s83, 0                                        // 000000004064: BF028053
	s_cbranch_scc0 label_1D39                                  // 000000004068: BF841C7A
	s_mov_b32 s58, s83                                         // 00000000406C: BEBA0053
	s_mov_b32 s59, 0                                           // 000000004070: BEBB0080
	s_cmp_ge_i32 s61, s85                                      // 000000004074: BF03553D
	s_cbranch_scc1 label_1D39                                  // 000000004078: BF851C76
	v_accvgpr_write_b32 a159, 0                                // 00000000407C: D3D9409F 18000080
	v_mov_b32_e32 v234, 0                                      // 000000004084: 7FD40280
	s_mov_b32 s71, s3                                          // 000000004088: BEC70003
	v_cvt_f32_u32_e32 v32, s44                                 // 00000000408C: 7E400C2C
	s_sub_i32 s60, 0, s44                                      // 000000004090: 81BC2C80
	v_rcp_iflag_f32_e32 v32, v32                               // 000000004094: 7E404720
	s_nop 0                                                    // 000000004098: BF800000
	v_mul_f32_e32 v32, 0x4f7ffffe, v32                         // 00000000409C: 0A4040FF 4F7FFFFE
	v_cvt_u32_f32_e32 v32, v32                                 // 0000000040A4: 7E400F20
	v_mul_lo_u32 v33, s60, v32                                 // 0000000040A8: D2850021 0002403C
	v_mul_hi_u32 v33, v32, v33                                 // 0000000040B0: D2860021 00024320
	v_add_u32_e32 v32, v32, v33                                // 0000000040B8: 68404320
	v_mul_hi_u32 v32, s71, v32                                 // 0000000040BC: D2860020 00024047
	v_mul_lo_u32 v33, v32, s44                                 // 0000000040C4: D2850021 00005920
	v_sub_u32_e32 v35, s71, v33                                // 0000000040CC: 6A464247
	v_add_u32_e32 v34, 1, v32                                  // 0000000040D0: 68444081
	v_cmp_le_u32_e32 vcc, s44, v35                             // 0000000040D4: 7D96462C
	v_subrev_u32_e32 v33, s44, v35                             // 0000000040D8: 6C42462C
	s_nop 0                                                    // 0000000040DC: BF800000
	v_cndmask_b32_e32 v32, v32, v34, vcc                       // 0000000040E0: 00404520
	v_cndmask_b32_e32 v35, v35, v33, vcc                       // 0000000040E4: 00464323
	v_add_u32_e32 v33, 1, v32                                  // 0000000040E8: 68424081
	v_cmp_le_u32_e32 vcc, s44, v35                             // 0000000040EC: 7D96462C
	s_nop 1                                                    // 0000000040F0: BF800001
	v_cndmask_b32_e32 v35, v32, v33, vcc                       // 0000000040F4: 00464320
	s_nop 3                                                    // 0000000040F8: BF800003
	v_readfirstlane_b32 s45, v35                               // 0000000040FC: 7E5A0523
	s_nop 3                                                    // 000000004100: BF800003
	s_mov_b32 s88, s8                                          // 000000004104: BED80008
	s_mov_b32 s90, s12                                         // 000000004108: BEDA000C
	s_mov_b32 s92, s16                                         // 00000000410C: BEDC0010
	s_mov_b32 s94, s20                                         // 000000004110: BEDE0014
	s_mov_b32 s89, s9                                          // 000000004114: BED90009
	s_mov_b32 s91, s13                                         // 000000004118: BEDB000D
	s_mov_b32 s93, s17                                         // 00000000411C: BEDD0011
	s_mov_b32 s95, s21                                         // 000000004120: BEDF0015
	v_mov_b32_e32 v32, s47                                     // 000000004124: 7E40022F
	v_mul_f32_e32 v32, s48, v32                                // 000000004128: 0A404030
	s_mov_b32 s66, 0                                           // 00000000412C: BEC20080
	s_mov_b32 s63, 0x5040100                                   // 000000004130: BEBF00FF 05040100
	s_mov_b32 s64, 0x7060302                                   // 000000004138: BEC000FF 07060302
	v_readfirstlane_b32 s57, v32                               // 000000004140: 7E720520
	v_mov_b32_e32 v34, 0x3020706                               // 000000004144: 7E4402FF 03020706
	v_mov_b32_e32 v32, s63                                     // 00000000414C: 7E40023F
	v_and_b32_e32 v33, 1, v0                                   // 000000004150: 26420081
	v_cmp_eq_u32_e32 vcc, 1, v33                               // 000000004154: 7D944281
	s_mov_b32 s67, 0x800                                       // 000000004158: BEC300FF 00000800
	v_cndmask_b32_e32 v17, v32, v34, vcc                       // 000000004160: 00224520
	v_mov_b32_e32 v230, 0xff800000                             // 000000004164: 7FCC02FF FF800000
	s_mul_i32 s68, 8, s5                                       // 00000000416C: 92440588
	s_mul_i32 s81, 8, s51                                      // 000000004170: 92513388
	s_mov_b32 s69, 32                                          // 000000004174: BEC500A0
	s_mul_i32 s60, s6, 0xc0                                    // 000000004178: 923CFF06 000000C0
	s_mul_i32 s60, s2, s60                                     // 000000004180: 923C3C02
	s_mul_i32 s61, s45, s76                                    // 000000004184: 923D4C2D
	s_add_u32 s54, s60, s61                                    // 000000004188: 80363D3C
	s_mul_i32 s60, s2, 0xc0                                    // 00000000418C: 923CFF02 000000C0
	s_sub_i32 s60, s85, s60                                    // 000000004194: 81BC3C55
	s_mul_i32 s60, s6, s60                                     // 000000004198: 923C3C06
	s_lshr_b32 s60, s60, 2                                     // 00000000419C: 8F3C823C
	s_mov_b32 s14, s60                                         // 0000000041A0: BE8E003C
	s_add_u32 s12, s54, s90                                    // 0000000041A4: 800C5A36
	s_addc_u32 s13, 0, s91                                     // 0000000041A8: 820D5B80
	s_mul_i32 s60, s84, s6                                     // 0000000041AC: 923C0654
	s_mul_hi_u32 s61, s84, s6                                  // 0000000041B0: 963D0654
	s_and_b32 s61, s61, 0xffff                                 // 0000000041B4: 863DFF3D 0000FFFF
	s_add_u32 s12, s12, s60                                    // 0000000041BC: 800C3C0C
	s_addc_u32 s13, s13, s61                                   // 0000000041C0: 820D3D0D
	s_mul_i32 s60, s7, 0xc0                                    // 0000000041C4: 923CFF07 000000C0
	s_mul_i32 s60, s2, s60                                     // 0000000041CC: 923C3C02
	s_mul_i32 s61, s45, s77                                    // 0000000041D0: 923D4D2D
	s_add_u32 s54, s60, s61                                    // 0000000041D4: 80363D3C
	s_mul_i32 s60, s2, 0xc0                                    // 0000000041D8: 923CFF02 000000C0
	s_sub_i32 s60, s85, s60                                    // 0000000041E0: 81BC3C55
	s_mul_i32 s60, s7, s60                                     // 0000000041E4: 923C3C07
	s_lshr_b32 s60, s60, 2                                     // 0000000041E8: 8F3C823C
	s_mov_b32 s18, s60                                         // 0000000041EC: BE92003C
	s_add_u32 s16, s54, s92                                    // 0000000041F0: 80105C36
	s_addc_u32 s17, 0, s93                                     // 0000000041F4: 82115D80
	s_mul_i32 s60, s84, s7                                     // 0000000041F8: 923C0754
	s_mul_hi_u32 s61, s84, s7                                  // 0000000041FC: 963D0754
	s_and_b32 s61, s61, 0xffff                                 // 000000004200: 863DFF3D 0000FFFF
	s_add_u32 s16, s16, s60                                    // 000000004208: 80103C10
	s_addc_u32 s17, s17, s61                                   // 00000000420C: 82113D11
	s_mul_i32 s61, s3, s75                                     // 000000004210: 923D4B03
	s_mov_b32 s55, s61                                         // 000000004214: BEB7003D
	s_mul_i32 s60, s5, s83                                     // 000000004218: 923C5305
	s_lshr_b32 s60, s60, 2                                     // 00000000421C: 8F3C823C
	s_mov_b32 s10, s60                                         // 000000004220: BE8A003C
	s_add_u32 s8, s55, s88                                     // 000000004224: 80085837
	s_addc_u32 s9, 0, s89                                      // 000000004228: 82095980
	s_mul_i32 s60, s82, s5                                     // 00000000422C: 923C0552
	s_mul_hi_u32 s61, s82, s5                                  // 000000004230: 963D0552
	s_and_b32 s61, s61, 0xffff                                 // 000000004234: 863DFF3D 0000FFFF
	s_add_u32 s8, s8, s60                                      // 00000000423C: 80083C08
	s_addc_u32 s9, s9, s61                                     // 000000004240: 82093D09
	s_mul_i32 s61, s3, s78                                     // 000000004244: 923D4E03
	s_mov_b32 s56, s61                                         // 000000004248: BEB8003D
	s_mul_i32 s60, s51, s83                                    // 00000000424C: 923C5333
	s_lshr_b32 s60, s60, 2                                     // 000000004250: 8F3C823C
	s_mov_b32 s22, s60                                         // 000000004254: BE96003C
	s_add_u32 s20, s56, s94                                    // 000000004258: 80145E38
	s_addc_u32 s21, 0, s95                                     // 00000000425C: 82155F80
	s_mul_i32 s60, s82, s51                                    // 000000004260: 923C3352
	s_mul_hi_u32 s61, s82, s51                                 // 000000004264: 963D3352
	s_and_b32 s61, s61, 0xffff                                 // 000000004268: 863DFF3D 0000FFFF
	s_add_u32 s20, s20, s60                                    // 000000004270: 80143C14
	s_addc_u32 s21, s21, s61                                   // 000000004274: 82153D15
	s_mul_i32 s62, 4, s82                                      // 000000004278: 923E5284
	s_mul_i32 s61, s3, s49                                     // 00000000427C: 923D3103
	s_add_u32 s65, s61, s62                                    // 000000004280: 80413E3D
	s_mul_i32 s60, 4, s83                                      // 000000004284: 923C5384
	s_add_u32 s60, s60, s61                                    // 000000004288: 803C3D3C
	s_add_u32 s60, s60, s62                                    // 00000000428C: 803C3E3C
	s_lshr_b32 s60, s60, 2                                     // 000000004290: 8F3C823C
	s_mov_b32 s26, s60                                         // 000000004294: BE9A003C
	s_mov_b32 s30, s60                                         // 000000004298: BE9E003C
	s_cmp_lt_u32 s46, 2                                        // 00000000429C: BF0A822E
	s_cselect_b32 s24, s24, s28                                // 0000000042A0: 85181C18
	s_cselect_b32 s25, s25, s29                                // 0000000042A4: 85191D19
	s_cselect_b32 s26, s26, s30                                // 0000000042A8: 851A1E1A
	s_cselect_b32 s27, s27, s31                                // 0000000042AC: 851B1F1B
	s_mov_b32 s71, s6                                          // 0000000042B0: BEC70006
	v_lshrrev_b32_e32 v32, 4, v0                               // 0000000042B4: 20400084
	v_and_b32_e32 v33, 1, v32                                  // 0000000042B8: 26424081
	v_lshlrev_b32_e32 v33, 1, v33                              // 0000000042BC: 24424281
	v_mul_i32_i24_e32 v33, s71, v33                            // 0000000042C0: 0C424247
	v_and_b32_e32 v34, 2, v32                                  // 0000000042C4: 26444082
	v_lshlrev_b32_e32 v34, 5, v34                              // 0000000042C8: 24444485
	v_add_u32_e32 v33, v34, v33                                // 0000000042CC: 68424322
	v_and_b32_e32 v32, 15, v0                                  // 0000000042D0: 2640008F
	v_lshlrev_b32_e32 v32, 2, v32                              // 0000000042D4: 24404082
	v_add_u32_e32 v1, v32, v33                                 // 0000000042D8: 68024320
	s_mul_i32 s60, s46, s71                                    // 0000000042DC: 923C472E
	s_mul_i32 s60, s60, 4                                      // 0000000042E0: 923C843C
	v_add_u32_e32 v1, s60, v1                                  // 0000000042E4: 6802023C
	v_add_u32_e32 v2, s71, v1                                  // 0000000042E8: 68040247
	s_mul_i32 s60, 16, s71                                     // 0000000042EC: 923C4790
	v_add_u32_e32 v3, s60, v1                                  // 0000000042F0: 6806023C
	v_add_u32_e32 v4, s60, v2                                  // 0000000042F4: 6808043C
	s_mov_b32 s71, s7                                          // 0000000042F8: BEC70007
	v_lshrrev_b32_e32 v32, 4, v0                               // 0000000042FC: 20400084
	v_and_b32_e32 v33, 1, v32                                  // 000000004300: 26424081
	v_lshlrev_b32_e32 v33, 1, v33                              // 000000004304: 24424281
	v_mul_i32_i24_e32 v33, s71, v33                            // 000000004308: 0C424247
	v_and_b32_e32 v34, 2, v32                                  // 00000000430C: 26444082
	v_lshlrev_b32_e32 v34, 5, v34                              // 000000004310: 24444485
	v_add_u32_e32 v33, v34, v33                                // 000000004314: 68424322
	v_and_b32_e32 v32, 15, v0                                  // 000000004318: 2640008F
	v_lshlrev_b32_e32 v32, 2, v32                              // 00000000431C: 24404082
	v_add_u32_e32 v231, v32, v33                               // 000000004320: 69CE4320
	s_mul_i32 s60, s46, s71                                    // 000000004324: 923C472E
	s_mul_i32 s60, s60, 4                                      // 000000004328: 923C843C
	v_add_u32_e32 v231, s60, v231                              // 00000000432C: 69CFCE3C
	v_add_u32_e32 v232, s71, v231                              // 000000004330: 69D1CE47
	s_mul_i32 s60, 16, s71                                     // 000000004334: 923C4790
	v_add_u32_e32 v233, s60, v231                              // 000000004338: 69D3CE3C
	v_add_u32_e32 v234, s60, v232                              // 00000000433C: 69D5D03C
	v_lshrrev_b32_e32 v1, 2, v1                                // 000000004340: 20020282
	v_lshrrev_b32_e32 v2, 2, v2                                // 000000004344: 20040482
	v_lshrrev_b32_e32 v231, 2, v231                            // 000000004348: 21CFCE82
	v_lshrrev_b32_e32 v232, 2, v232                            // 00000000434C: 21D1D082
	v_and_b32_e32 v11, 31, v0                                  // 000000004350: 2616009F
	v_lshlrev_b32_e32 v11, 2, v11                              // 000000004354: 24161682
	v_add_u32_e32 v11, s65, v11                                // 000000004358: 68161641
	v_lshrrev_b32_e32 v11, 2, v11                              // 00000000435C: 20161682
	s_mov_b32 s70, s52                                         // 000000004360: BEC60034
	v_lshrrev_b32_e32 v32, 3, v0                               // 000000004364: 20400083
	v_mul_i32_i24_e32 v5, s70, v32                             // 000000004368: 0C0A4046
	v_lshrrev_b32_e32 v5, 2, v5                                // 00000000436C: 200A0A82
	v_and_b32_e32 v32, 7, v0                                   // 000000004370: 26400087
	v_lshlrev_b32_e32 v33, 2, v32                              // 000000004374: 24424082
	v_add_u32_e32 v5, v33, v5                                  // 000000004378: 680A0B21
	s_mul_i32 s60, 16, s70                                     // 00000000437C: 923C4690
	s_mul_i32 s60, s46, s60                                    // 000000004380: 923C3C2E
	v_lshlrev_b32_e32 v5, 2, v5                                // 000000004384: 240A0A82
	v_add_u32_e32 v5, s60, v5                                  // 000000004388: 680A0A3C
	s_mul_i32 s60, 0xc0, s52                                   // 00000000438C: 923C34FF 000000C0
	s_mul_i32 s60, s2, s60                                     // 000000004394: 923C3C02
	s_mul_i32 s61, s3, s79                                     // 000000004398: 923D4F03
	s_mul_i32 s62, s84, s52                                    // 00000000439C: 923E3454
	s_add_u32 s60, s60, s61                                    // 0000000043A0: 803C3D3C
	v_add_u32_e32 v5, s60, v5                                  // 0000000043A4: 680A0A3C
	v_lshrrev_b32_e32 v5, 2, v5                                // 0000000043A8: 200A0A82
	s_mul_i32 s60, s85, s52                                    // 0000000043AC: 923C3455
	s_add_u32 s60, s60, s61                                    // 0000000043B0: 803C3D3C
	s_lshr_b32 s60, s60, 2                                     // 0000000043B4: 8F3C823C
	s_mov_b32 s38, s60                                         // 0000000043B8: BEA6003C
	s_mul_hi_u32 s60, s84, s52                                 // 0000000043BC: 963C3454
	s_and_b32 s60, s60, 0xffff                                 // 0000000043C0: 863CFF3C 0000FFFF
	s_add_u32 s36, s62, s36                                    // 0000000043C8: 8024243E
	s_addc_u32 s37, s60, s37                                   // 0000000043CC: 8225253C
	s_mov_b32 s70, s53                                         // 0000000043D0: BEC60035
	v_lshrrev_b32_e32 v32, 3, v0                               // 0000000043D4: 20400083
	v_mul_i32_i24_e32 v10, s70, v32                            // 0000000043D8: 0C144046
	v_lshrrev_b32_e32 v10, 2, v10                              // 0000000043DC: 20141482
	v_and_b32_e32 v32, 7, v0                                   // 0000000043E0: 26400087
	v_lshlrev_b32_e32 v33, 2, v32                              // 0000000043E4: 24424082
	v_add_u32_e32 v10, v33, v10                                // 0000000043E8: 68141521
	s_mul_i32 s60, 16, s70                                     // 0000000043EC: 923C4690
	s_mul_i32 s60, s46, s60                                    // 0000000043F0: 923C3C2E
	v_lshlrev_b32_e32 v10, 2, v10                              // 0000000043F4: 24141482
	v_add_u32_e32 v10, s60, v10                                // 0000000043F8: 6814143C
	s_mul_i32 s60, 0xc0, s53                                   // 0000000043FC: 923C35FF 000000C0
	s_mul_i32 s60, s2, s60                                     // 000000004404: 923C3C02
	s_mul_i32 s61, s3, s80                                     // 000000004408: 923D5003
	s_mul_i32 s62, s84, s53                                    // 00000000440C: 923E3554
	s_add_u32 s60, s60, s61                                    // 000000004410: 803C3D3C
	v_add_u32_e32 v10, s60, v10                                // 000000004414: 6814143C
	v_lshrrev_b32_e32 v10, 2, v10                              // 000000004418: 20141482
	s_mul_i32 s60, s85, s53                                    // 00000000441C: 923C3555
	s_add_u32 s60, s60, s61                                    // 000000004420: 803C3D3C
	s_lshr_b32 s60, s60, 2                                     // 000000004424: 8F3C823C
	s_mov_b32 s42, s60                                         // 000000004428: BEAA003C
	s_mul_hi_u32 s60, s84, s53                                 // 00000000442C: 963C3554
	s_and_b32 s60, s60, 0xffff                                 // 000000004430: 863CFF3C 0000FFFF
	s_add_u32 s40, s62, s40                                    // 000000004438: 8028283E
	s_addc_u32 s41, s60, s41                                   // 00000000443C: 8229293C
	v_lshrrev_b32_e32 v32, 5, v0                               // 000000004440: 20400085
	v_mul_i32_i24_e32 v6, 0x80, v32                            // 000000004444: 0C0C40FF 00000080
	v_and_b32_e32 v32, 31, v0                                  // 00000000444C: 2640009F
	v_add_u32_e32 v6, v32, v6                                  // 000000004450: 680C0D20
	s_mul_i32 s60, s46, 0x100                                  // 000000004454: 923CFF2E 00000100
	v_add_u32_e32 v6, s60, v6                                  // 00000000445C: 680C0C3C
	v_lshlrev_b32_e32 v6, 2, v6                                // 000000004460: 240C0C82
	v_add_u32_e32 v7, 0x100, v6                                // 000000004464: 680E0CFF 00000100
	v_add_u32_e32 v8, 0x1000, v6                               // 00000000446C: 68100CFF 00001000
	v_add_u32_e32 v9, 0x1000, v7                               // 000000004474: 68120EFF 00001000
	s_mul_i32 s72, 64, s65                                     // 00000000447C: 924841C0
	s_mul_hi_u32 s62, 64, s65                                  // 000000004480: 963E41C0
	s_and_b32 s62, s62, 0xffff                                 // 000000004484: 863EFF3E 0000FFFF
	s_add_u32 s32, s72, s32                                    // 00000000448C: 80202048
	s_addc_u32 s33, s62, s33                                   // 000000004490: 8221213E
	s_mul_i32 s60, 64, s83                                     // 000000004494: 923C53C0
	s_mov_b32 s34, s60                                         // 000000004498: BEA2003C
	v_lshrrev_b32_e32 v6, 2, v6                                // 00000000449C: 200C0C82
	v_lshrrev_b32_e32 v7, 2, v7                                // 0000000044A0: 200E0E82
	v_lshrrev_b32_e32 v8, 2, v8                                // 0000000044A4: 20101082
	v_lshrrev_b32_e32 v9, 2, v9                                // 0000000044A8: 20121282
	s_mul_i32 s60, 3, s2                                       // 0000000044AC: 923C0283
	s_add_u32 s61, s85, 63                                     // 0000000044B0: 803DBF55
	s_lshr_b32 s61, s61, 6                                     // 0000000044B4: 8F3D863D
	s_sub_i32 s73, s61, s60                                    // 0000000044B8: 81C93C3D
	s_cmp_lt_i32 s73, 3                                        // 0000000044BC: BF048349
	s_cselect_b32 s73, s73, 3                                  // 0000000044C0: 85498349
	v_mov_b32_e32 v227, 0xffff0000                             // 0000000044C4: 7FC602FF FFFF0000
	v_mov_b32_e32 v228, 0x7fff0000                             // 0000000044CC: 7FC802FF 7FFF0000
	v_mov_b32_e32 v229, 0x7fff                                 // 0000000044D4: 7FCA02FF 00007FFF
	s_mul_i32 s60, 0xc0, s2                                    // 0000000044DC: 923C02FF 000000C0
	s_sub_i32 s83, s85, s60                                    // 0000000044E4: 81D33C55
	s_lshr_b32 s60, s46, 1                                     // 0000000044E8: 8F3C812E
	s_lshl_b32 s60, s60, 8                                     // 0000000044EC: 8E3C883C
	s_add_u32 s76, 0x9a00, s60                                 // 0000000044F0: 804C3CFF 00009A00
	s_add_u32 s77, 0x200, s76                                  // 0000000044F8: 804D4CFF 00000200
	s_mov_b32 m0, s76                                          // 000000004500: BEFC004C
	v_and_b32_e32 v32, 31, v0                                  // 000000004504: 2640009F
	v_lshrrev_b32_e32 v32, 1, v32                              // 000000004508: 20404081
	v_and_b32_e32 v33, 1, v32                                  // 00000000450C: 26424081
	v_lshlrev_b32_e32 v33, 4, v33                              // 000000004510: 24424284
	v_and_b32_e32 v34, 2, v32                                  // 000000004514: 26444082
	v_lshlrev_b32_e32 v34, 2, v34                              // 000000004518: 24444482
	v_add_u32_e32 v33, v34, v33                                // 00000000451C: 68424322
	v_and_b32_e32 v34, 12, v32                                 // 000000004520: 2644408C
	v_lshrrev_b32_e32 v34, 1, v34                              // 000000004524: 20444481
	v_add_u32_e32 v33, v34, v33                                // 000000004528: 68424322
	v_lshrrev_b32_e32 v32, 5, v0                               // 00000000452C: 20400085
	v_mul_i32_i24_e32 v34, 0x80, v32                           // 000000004530: 0C4440FF 00000080
	v_add_u32_e32 v33, v34, v33                                // 000000004538: 68424322
	v_and_b32_e32 v34, 1, v0                                   // 00000000453C: 26440081
	v_add_u32_e32 v13, v34, v33                                // 000000004540: 681A4322
	s_mul_i32 s60, s46, 32                                     // 000000004544: 923CA02E
	v_add_u32_e32 v13, s60, v13                                // 000000004548: 681A1A3C
	v_lshlrev_b32_e32 v13, 2, v13                              // 00000000454C: 241A1A82
	v_lshrrev_b32_e32 v32, 4, v0                               // 000000004550: 20400084
	v_and_b32_e32 v33, 1, v32                                  // 000000004554: 26424081
	v_lshlrev_b32_e32 v33, 4, v33                              // 000000004558: 24424284
	v_and_b32_e32 v34, 2, v32                                  // 00000000455C: 26444082
	v_mul_i32_i24_e32 v34, 4, v34                              // 000000004560: 0C444484
	v_add_u32_e32 v33, v34, v33                                // 000000004564: 68424322
	v_and_b32_e32 v32, 15, v0                                  // 000000004568: 2640008F
	v_lshrrev_b32_e32 v34, 2, v32                              // 00000000456C: 20444082
	v_lshlrev_b32_e32 v34, 5, v34                              // 000000004570: 24444485
	v_add_u32_e32 v33, v34, v33                                // 000000004574: 68424322
	v_and_b32_e32 v32, 3, v0                                   // 000000004578: 26400083
	v_and_b32_e32 v34, 1, v32                                  // 00000000457C: 26444081
	v_mul_i32_i24_e32 v34, 0x108, v34                          // 000000004580: 0C4444FF 00000108
	v_add_u32_e32 v33, v34, v33                                // 000000004588: 68424322
	v_and_b32_e32 v34, 2, v32                                  // 00000000458C: 26444082
	v_lshlrev_b32_e32 v34, 1, v34                              // 000000004590: 24444481
	v_add_u32_e32 v12, v34, v33                                // 000000004594: 68184322
	v_lshlrev_b32_e32 v12, 2, v12                              // 000000004598: 24181882
	s_mul_i32 s60, s46, 0x880                                  // 00000000459C: 923CFF2E 00000880
	v_add_u32_e32 v24, s60, v12                                // 0000000045A4: 6830183C
	v_lshrrev_b32_e32 v32, 5, v0                               // 0000000045A8: 20400085
	v_mul_i32_i24_e32 v15, 0x80, v32                           // 0000000045AC: 0C1E40FF 00000080
	v_and_b32_e32 v32, 31, v0                                  // 0000000045B4: 2640009F
	v_and_b32_e32 v33, 7, v32                                  // 0000000045B8: 26424087
	v_and_b32_e32 v34, 1, v33                                  // 0000000045BC: 26444281
	v_lshlrev_b32_e32 v34, 2, v34                              // 0000000045C0: 24444482
	v_add_u32_e32 v15, v34, v15                                // 0000000045C4: 681E1F22
	v_and_b32_e32 v34, 2, v33                                  // 0000000045C8: 26444282
	v_lshlrev_b32_e32 v34, 3, v34                              // 0000000045CC: 24444483
	v_add_u32_e32 v15, v34, v15                                // 0000000045D0: 681E1F22
	v_and_b32_e32 v34, 4, v33                                  // 0000000045D4: 26444284
	v_lshlrev_b32_e32 v34, 1, v34                              // 0000000045D8: 24444481
	v_add_u32_e32 v15, v34, v15                                // 0000000045DC: 681E1F22
	v_lshrrev_b32_e32 v33, 3, v32                              // 0000000045E0: 20424083
	v_and_b32_e32 v34, 1, v33                                  // 0000000045E4: 26444281
	v_lshlrev_b32_e32 v34, 1, v34                              // 0000000045E8: 24444481
	v_add_u32_e32 v15, v34, v15                                // 0000000045EC: 681E1F22
	v_and_b32_e32 v34, 2, v33                                  // 0000000045F0: 26444282
	v_lshrrev_b32_e32 v34, 1, v34                              // 0000000045F4: 20444481
	v_add_u32_e32 v15, v34, v15                                // 0000000045F8: 681E1F22
	s_mul_i32 s60, s46, 32                                     // 0000000045FC: 923CA02E
	v_add_u32_e32 v15, s60, v15                                // 000000004600: 681E1E3C
	v_lshlrev_b32_e32 v15, 2, v15                              // 000000004604: 241E1E82
	v_and_b32_e32 v32, 15, v0                                  // 000000004608: 2640008F
	v_and_b32_e32 v34, 1, v32                                  // 00000000460C: 26444081
	v_mul_i32_i24_e32 v14, 0x108, v34                          // 000000004610: 0C1C44FF 00000108
	v_and_b32_e32 v34, 2, v32                                  // 000000004618: 26444082
	v_lshlrev_b32_e32 v34, 1, v34                              // 00000000461C: 24444481
	v_add_u32_e32 v14, v34, v14                                // 000000004620: 681C1D22
	v_and_b32_e32 v34, 4, v32                                  // 000000004624: 26444084
	v_lshlrev_b32_e32 v34, 2, v34                              // 000000004628: 24444482
	v_add_u32_e32 v14, v34, v14                                // 00000000462C: 681C1D22
	v_and_b32_e32 v34, 8, v32                                  // 000000004630: 26444088
	v_add_u32_e32 v14, v34, v14                                // 000000004634: 681C1D22
	v_lshrrev_b32_e32 v32, 4, v0                               // 000000004638: 20400084
	v_and_b32_e32 v34, 1, v32                                  // 00000000463C: 26444081
	v_lshlrev_b32_e32 v34, 5, v34                              // 000000004640: 24444485
	v_add_u32_e32 v14, v34, v14                                // 000000004644: 681C1D22
	v_and_b32_e32 v33, 2, v32                                  // 000000004648: 26424082
	v_mul_i32_i24_e32 v34, 32, v33                             // 00000000464C: 0C4442A0
	v_mul_i32_i24_e32 v33, 0x110, v33                          // 000000004650: 0C4242FF 00000110
	v_add_u32_e32 v25, v33, v14                                // 000000004658: 68321D21
	v_add_u32_e32 v14, v34, v14                                // 00000000465C: 681C1D22
	v_lshlrev_b32_e32 v14, 2, v14                              // 000000004660: 241C1C82
	v_lshlrev_b32_e32 v25, 2, v25                              // 000000004664: 24323282
	s_and_b32 s60, 1, s46                                      // 000000004668: 863C2E81
	s_mul_i32 s60, s60, 0x200                                  // 00000000466C: 923CFF3C 00000200
	v_add_u32_e32 v25, s60, v25                                // 000000004674: 6832323C
	v_lshrrev_b32_e32 v32, 4, v0                               // 000000004678: 20400084
	v_mul_i32_i24_e32 v23, 4, v32                              // 00000000467C: 0C2E4084
	v_and_b32_e32 v33, 3, v0                                   // 000000004680: 26420083
	v_add_u32_e32 v23, v33, v23                                // 000000004684: 682E2F21
	v_lshlrev_b32_e32 v23, 2, v23                              // 000000004688: 242E2E82
	v_lshrrev_b32_e32 v32, 4, v0                               // 00000000468C: 20400084
	v_and_b32_e32 v33, 1, v32                                  // 000000004690: 26424081
	v_mul_i32_i24_e32 v21, 0x100, v33                          // 000000004694: 0C2A42FF 00000100
	v_and_b32_e32 v33, 2, v32                                  // 00000000469C: 26424082
	v_mul_i32_i24_e32 v33, 64, v33                             // 0000000046A0: 0C4242C0
	v_add_u32_e32 v21, v33, v21                                // 0000000046A4: 682A2B21
	v_and_b32_e32 v32, 15, v0                                  // 0000000046A8: 2640008F
	v_mul_i32_i24_e32 v33, 2, v32                              // 0000000046AC: 0C424082
	v_add_u32_e32 v21, v33, v21                                // 0000000046B0: 682A2B21
	s_mul_i32 s60, s46, 32                                     // 0000000046B4: 923CA02E
	v_add_u32_e32 v21, s60, v21                                // 0000000046B8: 682A2A3C
	v_lshlrev_b32_e32 v21, 2, v21                              // 0000000046BC: 242A2A82
	v_lshlrev_b32_e32 v22, 1, v0                               // 0000000046C0: 242C0081
	s_mul_i32 s60, s46, 0x200                                  // 0000000046C4: 923CFF2E 00000200
	v_add_u32_e32 v22, s60, v22                                // 0000000046CC: 682C2C3C
	v_lshlrev_b32_e32 v22, 2, v22                              // 0000000046D0: 242C2C82
	v_lshrrev_b32_e32 v32, 5, v0                               // 0000000046D4: 20400085
	v_mul_i32_i24_e32 v19, 64, v32                             // 0000000046D8: 0C2640C0
	v_and_b32_e32 v32, 31, v0                                  // 0000000046DC: 2640009F
	v_and_b32_e32 v32, 3, v32                                  // 0000000046E0: 26404083
	v_and_b32_e32 v33, 1, v32                                  // 0000000046E4: 26424081
	v_mul_i32_i24_e32 v33, 4, v33                              // 0000000046E8: 0C424284
	v_add_u32_e32 v19, v33, v19                                // 0000000046EC: 68262721
	v_and_b32_e32 v33, 2, v32                                  // 0000000046F0: 26424082
	v_mul_i32_i24_e32 v33, 0x44, v33                           // 0000000046F4: 0C4242FF 00000044
	v_add_u32_e32 v19, v33, v19                                // 0000000046FC: 68262721
	v_and_b32_e32 v32, 31, v0                                  // 000000004700: 2640009F
	v_lshrrev_b32_e32 v32, 2, v32                              // 000000004704: 20404082
	v_lshrrev_b32_e32 v34, 2, v32                              // 000000004708: 20444082
	v_mul_i32_i24_e32 v33, 16, v34                             // 00000000470C: 0C424490
	v_add_u32_e32 v19, v33, v19                                // 000000004710: 68262721
	v_and_b32_e32 v33, 2, v32                                  // 000000004714: 26424082
	v_lshlrev_b32_e32 v33, 4, v33                              // 000000004718: 24424284
	v_add_u32_e32 v19, v33, v19                                // 00000000471C: 68262721
	v_and_b32_e32 v33, 1, v32                                  // 000000004720: 26424081
	v_xor_b32_e32 v33, v34, v33                                // 000000004724: 2A424322
	v_mul_i32_i24_e32 v33, 8, v33                              // 000000004728: 0C424288
	v_add_u32_e32 v19, v33, v19                                // 00000000472C: 68262721
	s_lshr_b32 s60, s46, 1                                     // 000000004730: 8F3C812E
	s_mul_i32 s60, s60, 0x6c0                                  // 000000004734: 923CFF3C 000006C0
	v_add_u32_e32 v19, s60, v19                                // 00000000473C: 6826263C
	v_lshlrev_b32_e32 v19, 2, v19                              // 000000004740: 24262682
	v_lshrrev_b32_e32 v32, 5, v0                               // 000000004744: 20400085
	v_mul_i32_i24_e32 v20, 32, v32                             // 000000004748: 0C2840A0
	v_and_b32_e32 v32, 31, v0                                  // 00000000474C: 2640009F
	v_and_b32_e32 v32, 3, v32                                  // 000000004750: 26404083
	v_and_b32_e32 v33, 1, v32                                  // 000000004754: 26424081
	v_mul_i32_i24_e32 v33, 4, v33                              // 000000004758: 0C424284
	v_add_u32_e32 v20, v33, v20                                // 00000000475C: 68282921
	v_and_b32_e32 v33, 2, v32                                  // 000000004760: 26424082
	v_lshrrev_b32_e32 v33, 1, v33                              // 000000004764: 20424281
	v_add_u32_e32 v20, v33, v20                                // 000000004768: 68282921
	v_and_b32_e32 v32, 31, v0                                  // 00000000476C: 2640009F
	v_lshrrev_b32_e32 v32, 2, v32                              // 000000004770: 20404082
	v_and_b32_e32 v34, 1, v32                                  // 000000004774: 26444081
	v_mul_i32_i24_e32 v33, 16, v34                             // 000000004778: 0C424490
	v_add_u32_e32 v20, v33, v20                                // 00000000477C: 68282921
	v_and_b32_e32 v33, 2, v32                                  // 000000004780: 26424082
	v_add_u32_e32 v20, v33, v20                                // 000000004784: 68282921
	v_lshrrev_b32_e32 v33, 2, v32                              // 000000004788: 20424082
	v_xor_b32_e32 v33, v34, v33                                // 00000000478C: 2A424322
	v_mul_i32_i24_e32 v33, 8, v33                              // 000000004790: 0C424288
	v_add_u32_e32 v20, v33, v20                                // 000000004794: 68282921
	s_and_b32 s60, 1, s46                                      // 000000004798: 863C2E81
	s_mul_i32 s60, s60, 64                                     // 00000000479C: 923CC03C
	s_lshr_b32 s61, s46, 1                                     // 0000000047A0: 8F3D812E
	s_mul_i32 s61, s61, 0x120                                  // 0000000047A4: 923DFF3D 00000120
	s_add_u32 s60, s60, s61                                    // 0000000047AC: 803C3D3C
	v_add_u32_e32 v20, s60, v20                                // 0000000047B0: 6828283C
	v_lshlrev_b32_e32 v20, 2, v20                              // 0000000047B4: 24282882
	buffer_load_dword v178, v1, s[12:15], 0 idxen              // 0000000047B8: E0502000 8003B201
	buffer_load_dword v179, v2, s[12:15], 0 idxen              // 0000000047C0: E0502000 8003B302
	s_mul_i32 s60, 4, s6                                       // 0000000047C8: 923C0684
	s_cmp_lt_i32 0, s73                                        // 0000000047CC: BF044980
	s_cselect_b32 s60, s60, 0                                  // 0000000047D0: 853C803C
	v_add_u32_e32 v1, s60, v1                                  // 0000000047D4: 6802023C
	v_add_u32_e32 v2, s60, v2                                  // 0000000047D8: 6804043C
	buffer_load_dword v180, v1, s[12:15], 0 idxen              // 0000000047DC: E0502000 8003B401
	buffer_load_dword v181, v2, s[12:15], 0 idxen              // 0000000047E4: E0502000 8003B502
	s_mul_i32 s60, 4, s6                                       // 0000000047EC: 923C0684
	s_cmp_lt_i32 0, s73                                        // 0000000047F0: BF044980
	s_cselect_b32 s60, s60, 0                                  // 0000000047F4: 853C803C
	v_add_u32_e32 v1, s60, v1                                  // 0000000047F8: 6802023C
	v_add_u32_e32 v2, s60, v2                                  // 0000000047FC: 6804043C
	buffer_load_dword v182, v1, s[12:15], 0 idxen              // 000000004800: E0502000 8003B601
	buffer_load_dword v183, v2, s[12:15], 0 idxen              // 000000004808: E0502000 8003B702
	s_mul_i32 s60, 4, s6                                       // 000000004810: 923C0684
	s_cmp_lt_i32 0, s73                                        // 000000004814: BF044980
	s_cselect_b32 s60, s60, 0                                  // 000000004818: 853C803C
	v_add_u32_e32 v1, s60, v1                                  // 00000000481C: 6802023C
	v_add_u32_e32 v2, s60, v2                                  // 000000004820: 6804043C
	buffer_load_dword v184, v1, s[12:15], 0 idxen              // 000000004824: E0502000 8003B801
	buffer_load_dword v185, v2, s[12:15], 0 idxen              // 00000000482C: E0502000 8003B902
	s_mul_i32 s60, 4, s6                                       // 000000004834: 923C0684
	s_cmp_lt_i32 1, s73                                        // 000000004838: BF044981
	s_cselect_b32 s60, s60, 0                                  // 00000000483C: 853C803C
	v_add_u32_e32 v1, s60, v1                                  // 000000004840: 6802023C
	v_add_u32_e32 v2, s60, v2                                  // 000000004844: 6804043C
	buffer_load_dword v186, v1, s[12:15], 0 idxen              // 000000004848: E0502000 8003BA01
	buffer_load_dword v187, v2, s[12:15], 0 idxen              // 000000004850: E0502000 8003BB02
	s_mul_i32 s60, 4, s6                                       // 000000004858: 923C0684
	s_cmp_lt_i32 1, s73                                        // 00000000485C: BF044981
	s_cselect_b32 s60, s60, 0                                  // 000000004860: 853C803C
	v_add_u32_e32 v1, s60, v1                                  // 000000004864: 6802023C
	v_add_u32_e32 v2, s60, v2                                  // 000000004868: 6804043C
	buffer_load_dword v188, v1, s[12:15], 0 idxen              // 00000000486C: E0502000 8003BC01
	buffer_load_dword v189, v2, s[12:15], 0 idxen              // 000000004874: E0502000 8003BD02
	s_mul_i32 s60, 4, s6                                       // 00000000487C: 923C0684
	s_cmp_lt_i32 1, s73                                        // 000000004880: BF044981
	s_cselect_b32 s60, s60, 0                                  // 000000004884: 853C803C
	v_add_u32_e32 v1, s60, v1                                  // 000000004888: 6802023C
	v_add_u32_e32 v2, s60, v2                                  // 00000000488C: 6804043C
	buffer_load_dword v190, v1, s[12:15], 0 idxen              // 000000004890: E0502000 8003BE01
	buffer_load_dword v191, v2, s[12:15], 0 idxen              // 000000004898: E0502000 8003BF02
	s_mul_i32 s60, 4, s6                                       // 0000000048A0: 923C0684
	s_cmp_lt_i32 1, s73                                        // 0000000048A4: BF044981
	s_cselect_b32 s60, s60, 0                                  // 0000000048A8: 853C803C
	v_add_u32_e32 v1, s60, v1                                  // 0000000048AC: 6802023C
	v_add_u32_e32 v2, s60, v2                                  // 0000000048B0: 6804043C
	buffer_load_dword v192, v1, s[12:15], 0 idxen              // 0000000048B4: E0502000 8003C001
	buffer_load_dword v193, v2, s[12:15], 0 idxen              // 0000000048BC: E0502000 8003C102
	s_mul_i32 s60, 4, s6                                       // 0000000048C4: 923C0684
	s_cmp_lt_i32 2, s73                                        // 0000000048C8: BF044982
	s_cselect_b32 s60, s60, 0                                  // 0000000048CC: 853C803C
	v_add_u32_e32 v1, s60, v1                                  // 0000000048D0: 6802023C
	v_add_u32_e32 v2, s60, v2                                  // 0000000048D4: 6804043C
	buffer_load_dword v194, v1, s[12:15], 0 idxen              // 0000000048D8: E0502000 8003C201
	buffer_load_dword v195, v2, s[12:15], 0 idxen              // 0000000048E0: E0502000 8003C302
	s_mul_i32 s60, 4, s6                                       // 0000000048E8: 923C0684
	s_cmp_lt_i32 2, s73                                        // 0000000048EC: BF044982
	s_cselect_b32 s60, s60, 0                                  // 0000000048F0: 853C803C
	v_add_u32_e32 v1, s60, v1                                  // 0000000048F4: 6802023C
	v_add_u32_e32 v2, s60, v2                                  // 0000000048F8: 6804043C
	buffer_load_dword v196, v1, s[12:15], 0 idxen              // 0000000048FC: E0502000 8003C401
	buffer_load_dword v197, v2, s[12:15], 0 idxen              // 000000004904: E0502000 8003C502
	s_mul_i32 s60, 4, s6                                       // 00000000490C: 923C0684
	s_cmp_lt_i32 2, s73                                        // 000000004910: BF044982
	s_cselect_b32 s60, s60, 0                                  // 000000004914: 853C803C
	v_add_u32_e32 v1, s60, v1                                  // 000000004918: 6802023C
	v_add_u32_e32 v2, s60, v2                                  // 00000000491C: 6804043C
	buffer_load_dword v198, v1, s[12:15], 0 idxen              // 000000004920: E0502000 8003C601
	buffer_load_dword v199, v2, s[12:15], 0 idxen              // 000000004928: E0502000 8003C702
	s_mul_i32 s60, 4, s6                                       // 000000004930: 923C0684
	s_cmp_lt_i32 2, s73                                        // 000000004934: BF044982
	s_cselect_b32 s60, s60, 0                                  // 000000004938: 853C803C
	v_add_u32_e32 v1, s60, v1                                  // 00000000493C: 6802023C
	v_add_u32_e32 v2, s60, v2                                  // 000000004940: 6804043C
	buffer_load_dword v200, v1, s[12:15], 0 idxen              // 000000004944: E0502000 8003C801
	buffer_load_dword v201, v2, s[12:15], 0 idxen              // 00000000494C: E0502000 8003C902
	s_mul_i32 s60, 4, s6                                       // 000000004954: 923C0684
	s_cmp_lt_i32 3, s73                                        // 000000004958: BF044983
	s_cselect_b32 s60, s60, 0                                  // 00000000495C: 853C803C
	v_add_u32_e32 v1, s60, v1                                  // 000000004960: 6802023C
	v_add_u32_e32 v2, s60, v2                                  // 000000004964: 6804043C
	s_waitcnt vmcnt(16) lgkmcnt(0)                             // 000000004968: BF8C4070
	s_barrier                                                  // 00000000496C: BF8A0000
	s_cmp_lt_i32 0, s73                                        // 000000004970: BF044980
	s_cbranch_scc1 label_02E6                                  // 000000004974: BF850008
	v_mov_b32_e32 v178, 0                                      // 000000004978: 7F640280
	v_mov_b32_e32 v179, 0                                      // 00000000497C: 7F660280
	v_mov_b32_e32 v180, 0                                      // 000000004980: 7F680280
	v_mov_b32_e32 v181, 0                                      // 000000004984: 7F6A0280
	v_mov_b32_e32 v182, 0                                      // 000000004988: 7F6C0280
	v_mov_b32_e32 v183, 0                                      // 00000000498C: 7F6E0280
	v_mov_b32_e32 v184, 0                                      // 000000004990: 7F700280
	v_mov_b32_e32 v185, 0                                      // 000000004994: 7F720280

0000000000004998 <label_02E6>:
	v_perm_b32 v202, v179, v178, s63                           // 000000004998: D1ED00CA 00FF65B3
	v_perm_b32 v203, v179, v178, s64                           // 0000000049A0: D1ED00CB 010365B3
	v_perm_b32 v204, v181, v180, s63                           // 0000000049A8: D1ED00CC 00FF69B5
	v_perm_b32 v205, v181, v180, s64                           // 0000000049B0: D1ED00CD 010369B5
	v_perm_b32 v206, v183, v182, s63                           // 0000000049B8: D1ED00CE 00FF6DB7
	v_perm_b32 v207, v183, v182, s64                           // 0000000049C0: D1ED00CF 01036DB7
	v_perm_b32 v208, v185, v184, s63                           // 0000000049C8: D1ED00D0 00FF71B9
	v_perm_b32 v209, v185, v184, s64                           // 0000000049D0: D1ED00D1 010371B9
	ds_write_b32 v15, v202 offset:8704                         // 0000000049D8: D81A2200 0000CA0F
	ds_write_b32 v15, v203 offset:9760                         // 0000000049E0: D81A2620 0000CB0F
	ds_write_b32 v15, v204 offset:10880                        // 0000000049E8: D81A2A80 0000CC0F
	ds_write_b32 v15, v205 offset:11936                        // 0000000049F0: D81A2EA0 0000CD0F
	ds_write_b32 v15, v206 offset:13056                        // 0000000049F8: D81A3300 0000CE0F
	ds_write_b32 v15, v207 offset:14112                        // 000000004A00: D81A3720 0000CF0F
	ds_write_b32 v15, v208 offset:15232                        // 000000004A08: D81A3B80 0000D00F
	ds_write_b32 v15, v209 offset:16288                        // 000000004A10: D81A3FA0 0000D10F
	ds_write_b32 v13, v178                                     // 000000004A18: D81A0000 0000B20D
	ds_write_b32 v13, v179 offset:1056                         // 000000004A20: D81A0420 0000B30D
	ds_write_b32 v13, v180 offset:2176                         // 000000004A28: D81A0880 0000B40D
	ds_write_b32 v13, v181 offset:3232                         // 000000004A30: D81A0CA0 0000B50D
	ds_write_b32 v13, v182 offset:4352                         // 000000004A38: D81A1100 0000B60D
	ds_write_b32 v13, v183 offset:5408                         // 000000004A40: D81A1520 0000B70D
	ds_write_b32 v13, v184 offset:6528                         // 000000004A48: D81A1980 0000B80D
	ds_write_b32 v13, v185 offset:7584                         // 000000004A50: D81A1DA0 0000B90D
	buffer_load_dword v178, v231, s[16:19], 0 idxen            // 000000004A58: E0502000 8004B2E7
	buffer_load_dword v179, v232, s[16:19], 0 idxen            // 000000004A60: E0502000 8004B3E8
	s_mul_i32 s60, 4, s7                                       // 000000004A68: 923C0784
	s_cmp_lt_i32 0, s73                                        // 000000004A6C: BF044980
	s_cselect_b32 s60, s60, 0                                  // 000000004A70: 853C803C
	v_add_u32_e32 v231, s60, v231                              // 000000004A74: 69CFCE3C
	v_add_u32_e32 v232, s60, v232                              // 000000004A78: 69D1D03C
	buffer_load_dword v180, v231, s[16:19], 0 idxen            // 000000004A7C: E0502000 8004B4E7
	buffer_load_dword v181, v232, s[16:19], 0 idxen            // 000000004A84: E0502000 8004B5E8
	s_mul_i32 s60, 4, s7                                       // 000000004A8C: 923C0784
	s_cmp_lt_i32 0, s73                                        // 000000004A90: BF044980
	s_cselect_b32 s60, s60, 0                                  // 000000004A94: 853C803C
	v_add_u32_e32 v231, s60, v231                              // 000000004A98: 69CFCE3C
	v_add_u32_e32 v232, s60, v232                              // 000000004A9C: 69D1D03C
	buffer_load_dword v182, v231, s[16:19], 0 idxen            // 000000004AA0: E0502000 8004B6E7
	buffer_load_dword v183, v232, s[16:19], 0 idxen            // 000000004AA8: E0502000 8004B7E8
	s_mul_i32 s60, 4, s7                                       // 000000004AB0: 923C0784
	s_cmp_lt_i32 0, s73                                        // 000000004AB4: BF044980
	s_cselect_b32 s60, s60, 0                                  // 000000004AB8: 853C803C
	v_add_u32_e32 v231, s60, v231                              // 000000004ABC: 69CFCE3C
	v_add_u32_e32 v232, s60, v232                              // 000000004AC0: 69D1D03C
	buffer_load_dword v184, v231, s[16:19], 0 idxen            // 000000004AC4: E0502000 8004B8E7
	buffer_load_dword v185, v232, s[16:19], 0 idxen            // 000000004ACC: E0502000 8004B9E8
	s_mul_i32 s60, 4, s7                                       // 000000004AD4: 923C0784
	s_cmp_lt_i32 1, s73                                        // 000000004AD8: BF044981
	s_cselect_b32 s60, s60, 0                                  // 000000004ADC: 853C803C
	v_add_u32_e32 v231, s60, v231                              // 000000004AE0: 69CFCE3C
	v_add_u32_e32 v232, s60, v232                              // 000000004AE4: 69D1D03C
	s_waitcnt lgkmcnt(0)                                       // 000000004AE8: BF8CC07F
	s_barrier                                                  // 000000004AEC: BF8A0000
	ds_read_b128 a[24:27], v25 offset:8704                     // 000000004AF0: DBFE2200 18000019
	ds_read_b128 a[28:31], v25 offset:8960                     // 000000004AF8: DBFE2300 1C000019
	ds_read_b128 a[32:35], v25 offset:13056                    // 000000004B00: DBFE3300 20000019
	ds_read_b128 a[36:39], v25 offset:13312                    // 000000004B08: DBFE3400 24000019
	ds_read_b128 a[0:3], v24                                   // 000000004B10: DBFE0000 00000018
	ds_read_b128 a[4:7], v24 offset:512                        // 000000004B18: DBFE0200 04000018
	s_waitcnt vmcnt(16) lgkmcnt(0)                             // 000000004B20: BF8C4070
	s_barrier                                                  // 000000004B24: BF8A0000
	s_cmp_lt_i32 1, s73                                        // 000000004B28: BF044981
	s_cbranch_scc1 label_0354                                  // 000000004B2C: BF850008
	v_mov_b32_e32 v186, 0                                      // 000000004B30: 7F740280
	v_mov_b32_e32 v187, 0                                      // 000000004B34: 7F760280
	v_mov_b32_e32 v188, 0                                      // 000000004B38: 7F780280
	v_mov_b32_e32 v189, 0                                      // 000000004B3C: 7F7A0280
	v_mov_b32_e32 v190, 0                                      // 000000004B40: 7F7C0280
	v_mov_b32_e32 v191, 0                                      // 000000004B44: 7F7E0280
	v_mov_b32_e32 v192, 0                                      // 000000004B48: 7F800280
	v_mov_b32_e32 v193, 0                                      // 000000004B4C: 7F820280

0000000000004b50 <label_0354>:
	v_perm_b32 v202, v187, v186, s63                           // 000000004B50: D1ED00CA 00FF75BB
	v_perm_b32 v203, v187, v186, s64                           // 000000004B58: D1ED00CB 010375BB
	v_perm_b32 v204, v189, v188, s63                           // 000000004B60: D1ED00CC 00FF79BD
	v_perm_b32 v205, v189, v188, s64                           // 000000004B68: D1ED00CD 010379BD
	v_perm_b32 v206, v191, v190, s63                           // 000000004B70: D1ED00CE 00FF7DBF
	v_perm_b32 v207, v191, v190, s64                           // 000000004B78: D1ED00CF 01037DBF
	v_perm_b32 v208, v193, v192, s63                           // 000000004B80: D1ED00D0 00FF81C1
	v_perm_b32 v209, v193, v192, s64                           // 000000004B88: D1ED00D1 010381C1
	ds_write_b32 v15, v202 offset:8704                         // 000000004B90: D81A2200 0000CA0F
	ds_write_b32 v15, v203 offset:9760                         // 000000004B98: D81A2620 0000CB0F
	ds_write_b32 v15, v204 offset:10880                        // 000000004BA0: D81A2A80 0000CC0F
	ds_write_b32 v15, v205 offset:11936                        // 000000004BA8: D81A2EA0 0000CD0F
	ds_write_b32 v15, v206 offset:13056                        // 000000004BB0: D81A3300 0000CE0F
	ds_write_b32 v15, v207 offset:14112                        // 000000004BB8: D81A3720 0000CF0F
	ds_write_b32 v15, v208 offset:15232                        // 000000004BC0: D81A3B80 0000D00F
	ds_write_b32 v15, v209 offset:16288                        // 000000004BC8: D81A3FA0 0000D10F
	ds_write_b32 v13, v186                                     // 000000004BD0: D81A0000 0000BA0D
	ds_write_b32 v13, v187 offset:1056                         // 000000004BD8: D81A0420 0000BB0D
	ds_write_b32 v13, v188 offset:2176                         // 000000004BE0: D81A0880 0000BC0D
	ds_write_b32 v13, v189 offset:3232                         // 000000004BE8: D81A0CA0 0000BD0D
	ds_write_b32 v13, v190 offset:4352                         // 000000004BF0: D81A1100 0000BE0D
	ds_write_b32 v13, v191 offset:5408                         // 000000004BF8: D81A1520 0000BF0D
	ds_write_b32 v13, v192 offset:6528                         // 000000004C00: D81A1980 0000C00D
	ds_write_b32 v13, v193 offset:7584                         // 000000004C08: D81A1DA0 0000C10D
	buffer_load_dword v186, v231, s[16:19], 0 idxen            // 000000004C10: E0502000 8004BAE7
	buffer_load_dword v187, v232, s[16:19], 0 idxen            // 000000004C18: E0502000 8004BBE8
	s_mul_i32 s60, 4, s7                                       // 000000004C20: 923C0784
	s_cmp_lt_i32 1, s73                                        // 000000004C24: BF044981
	s_cselect_b32 s60, s60, 0                                  // 000000004C28: 853C803C
	v_add_u32_e32 v231, s60, v231                              // 000000004C2C: 69CFCE3C
	v_add_u32_e32 v232, s60, v232                              // 000000004C30: 69D1D03C
	buffer_load_dword v188, v231, s[16:19], 0 idxen            // 000000004C34: E0502000 8004BCE7
	buffer_load_dword v189, v232, s[16:19], 0 idxen            // 000000004C3C: E0502000 8004BDE8
	s_mul_i32 s60, 4, s7                                       // 000000004C44: 923C0784
	s_cmp_lt_i32 1, s73                                        // 000000004C48: BF044981
	s_cselect_b32 s60, s60, 0                                  // 000000004C4C: 853C803C
	v_add_u32_e32 v231, s60, v231                              // 000000004C50: 69CFCE3C
	v_add_u32_e32 v232, s60, v232                              // 000000004C54: 69D1D03C
	buffer_load_dword v190, v231, s[16:19], 0 idxen            // 000000004C58: E0502000 8004BEE7
	buffer_load_dword v191, v232, s[16:19], 0 idxen            // 000000004C60: E0502000 8004BFE8
	s_mul_i32 s60, 4, s7                                       // 000000004C68: 923C0784
	s_cmp_lt_i32 1, s73                                        // 000000004C6C: BF044981
	s_cselect_b32 s60, s60, 0                                  // 000000004C70: 853C803C
	v_add_u32_e32 v231, s60, v231                              // 000000004C74: 69CFCE3C
	v_add_u32_e32 v232, s60, v232                              // 000000004C78: 69D1D03C
	buffer_load_dword v192, v231, s[16:19], 0 idxen            // 000000004C7C: E0502000 8004C0E7
	buffer_load_dword v193, v232, s[16:19], 0 idxen            // 000000004C84: E0502000 8004C1E8
	s_mul_i32 s60, 4, s7                                       // 000000004C8C: 923C0784
	s_cmp_lt_i32 2, s73                                        // 000000004C90: BF044982
	s_cselect_b32 s60, s60, 0                                  // 000000004C94: 853C803C
	v_add_u32_e32 v231, s60, v231                              // 000000004C98: 69CFCE3C
	v_add_u32_e32 v232, s60, v232                              // 000000004C9C: 69D1D03C
	s_waitcnt lgkmcnt(0)                                       // 000000004CA0: BF8CC07F
	s_barrier                                                  // 000000004CA4: BF8A0000
	ds_read_b128 a[40:43], v25 offset:8704                     // 000000004CA8: DBFE2200 28000019
	ds_read_b128 a[44:47], v25 offset:8960                     // 000000004CB0: DBFE2300 2C000019
	ds_read_b128 a[48:51], v25 offset:13056                    // 000000004CB8: DBFE3300 30000019
	ds_read_b128 a[52:55], v25 offset:13312                    // 000000004CC0: DBFE3400 34000019
	ds_read_b128 a[8:11], v24                                  // 000000004CC8: DBFE0000 08000018
	ds_read_b128 a[12:15], v24 offset:512                      // 000000004CD0: DBFE0200 0C000018
	s_waitcnt vmcnt(16) lgkmcnt(0)                             // 000000004CD8: BF8C4070
	s_barrier                                                  // 000000004CDC: BF8A0000
	s_cmp_lt_i32 2, s73                                        // 000000004CE0: BF044982
	s_cbranch_scc1 label_03C2                                  // 000000004CE4: BF850008
	v_mov_b32_e32 v194, 0                                      // 000000004CE8: 7F840280
	v_mov_b32_e32 v195, 0                                      // 000000004CEC: 7F860280
	v_mov_b32_e32 v196, 0                                      // 000000004CF0: 7F880280
	v_mov_b32_e32 v197, 0                                      // 000000004CF4: 7F8A0280
	v_mov_b32_e32 v198, 0                                      // 000000004CF8: 7F8C0280
	v_mov_b32_e32 v199, 0                                      // 000000004CFC: 7F8E0280
	v_mov_b32_e32 v200, 0                                      // 000000004D00: 7F900280
	v_mov_b32_e32 v201, 0                                      // 000000004D04: 7F920280

0000000000004d08 <label_03C2>:
	v_perm_b32 v202, v195, v194, s63                           // 000000004D08: D1ED00CA 00FF85C3
	v_perm_b32 v203, v195, v194, s64                           // 000000004D10: D1ED00CB 010385C3
	v_perm_b32 v204, v197, v196, s63                           // 000000004D18: D1ED00CC 00FF89C5
	v_perm_b32 v205, v197, v196, s64                           // 000000004D20: D1ED00CD 010389C5
	v_perm_b32 v206, v199, v198, s63                           // 000000004D28: D1ED00CE 00FF8DC7
	v_perm_b32 v207, v199, v198, s64                           // 000000004D30: D1ED00CF 01038DC7
	v_perm_b32 v208, v201, v200, s63                           // 000000004D38: D1ED00D0 00FF91C9
	v_perm_b32 v209, v201, v200, s64                           // 000000004D40: D1ED00D1 010391C9
	ds_write_b32 v15, v202 offset:8704                         // 000000004D48: D81A2200 0000CA0F
	ds_write_b32 v15, v203 offset:9760                         // 000000004D50: D81A2620 0000CB0F
	ds_write_b32 v15, v204 offset:10880                        // 000000004D58: D81A2A80 0000CC0F
	ds_write_b32 v15, v205 offset:11936                        // 000000004D60: D81A2EA0 0000CD0F
	ds_write_b32 v15, v206 offset:13056                        // 000000004D68: D81A3300 0000CE0F
	ds_write_b32 v15, v207 offset:14112                        // 000000004D70: D81A3720 0000CF0F
	ds_write_b32 v15, v208 offset:15232                        // 000000004D78: D81A3B80 0000D00F
	ds_write_b32 v15, v209 offset:16288                        // 000000004D80: D81A3FA0 0000D10F
	ds_write_b32 v13, v194                                     // 000000004D88: D81A0000 0000C20D
	ds_write_b32 v13, v195 offset:1056                         // 000000004D90: D81A0420 0000C30D
	ds_write_b32 v13, v196 offset:2176                         // 000000004D98: D81A0880 0000C40D
	ds_write_b32 v13, v197 offset:3232                         // 000000004DA0: D81A0CA0 0000C50D
	ds_write_b32 v13, v198 offset:4352                         // 000000004DA8: D81A1100 0000C60D
	ds_write_b32 v13, v199 offset:5408                         // 000000004DB0: D81A1520 0000C70D
	ds_write_b32 v13, v200 offset:6528                         // 000000004DB8: D81A1980 0000C80D
	ds_write_b32 v13, v201 offset:7584                         // 000000004DC0: D81A1DA0 0000C90D
	buffer_load_dword v194, v231, s[16:19], 0 idxen            // 000000004DC8: E0502000 8004C2E7
	buffer_load_dword v195, v232, s[16:19], 0 idxen            // 000000004DD0: E0502000 8004C3E8
	s_mul_i32 s60, 4, s7                                       // 000000004DD8: 923C0784
	s_cmp_lt_i32 2, s73                                        // 000000004DDC: BF044982
	s_cselect_b32 s60, s60, 0                                  // 000000004DE0: 853C803C
	v_add_u32_e32 v231, s60, v231                              // 000000004DE4: 69CFCE3C
	v_add_u32_e32 v232, s60, v232                              // 000000004DE8: 69D1D03C
	buffer_load_dword v196, v231, s[16:19], 0 idxen            // 000000004DEC: E0502000 8004C4E7
	buffer_load_dword v197, v232, s[16:19], 0 idxen            // 000000004DF4: E0502000 8004C5E8
	s_mul_i32 s60, 4, s7                                       // 000000004DFC: 923C0784
	s_cmp_lt_i32 2, s73                                        // 000000004E00: BF044982
	s_cselect_b32 s60, s60, 0                                  // 000000004E04: 853C803C
	v_add_u32_e32 v231, s60, v231                              // 000000004E08: 69CFCE3C
	v_add_u32_e32 v232, s60, v232                              // 000000004E0C: 69D1D03C
	buffer_load_dword v198, v231, s[16:19], 0 idxen            // 000000004E10: E0502000 8004C6E7
	buffer_load_dword v199, v232, s[16:19], 0 idxen            // 000000004E18: E0502000 8004C7E8
	s_mul_i32 s60, 4, s7                                       // 000000004E20: 923C0784
	s_cmp_lt_i32 2, s73                                        // 000000004E24: BF044982
	s_cselect_b32 s60, s60, 0                                  // 000000004E28: 853C803C
	v_add_u32_e32 v231, s60, v231                              // 000000004E2C: 69CFCE3C
	v_add_u32_e32 v232, s60, v232                              // 000000004E30: 69D1D03C
	buffer_load_dword v200, v231, s[16:19], 0 idxen            // 000000004E34: E0502000 8004C8E7
	buffer_load_dword v201, v232, s[16:19], 0 idxen            // 000000004E3C: E0502000 8004C9E8
	s_mul_i32 s60, 4, s7                                       // 000000004E44: 923C0784
	s_cmp_lt_i32 3, s73                                        // 000000004E48: BF044983
	s_cselect_b32 s60, s60, 0                                  // 000000004E4C: 853C803C
	v_add_u32_e32 v231, s60, v231                              // 000000004E50: 69CFCE3C
	v_add_u32_e32 v232, s60, v232                              // 000000004E54: 69D1D03C
	s_waitcnt lgkmcnt(0)                                       // 000000004E58: BF8CC07F
	s_barrier                                                  // 000000004E5C: BF8A0000
	ds_read_b128 a[56:59], v25 offset:8704                     // 000000004E60: DBFE2200 38000019
	ds_read_b128 a[60:63], v25 offset:8960                     // 000000004E68: DBFE2300 3C000019
	ds_read_b128 a[64:67], v25 offset:13056                    // 000000004E70: DBFE3300 40000019
	ds_read_b128 a[68:71], v25 offset:13312                    // 000000004E78: DBFE3400 44000019
	ds_read_b128 a[16:19], v24                                 // 000000004E80: DBFE0000 10000018
	ds_read_b128 a[20:23], v24 offset:512                      // 000000004E88: DBFE0200 14000018
	s_waitcnt vmcnt(16) lgkmcnt(0)                             // 000000004E90: BF8C4070
	s_barrier                                                  // 000000004E94: BF8A0000
	s_cmp_lt_i32 0, s73                                        // 000000004E98: BF044980
	s_cbranch_scc1 label_0430                                  // 000000004E9C: BF850008
	v_mov_b32_e32 v178, 0                                      // 000000004EA0: 7F640280
	v_mov_b32_e32 v179, 0                                      // 000000004EA4: 7F660280
	v_mov_b32_e32 v180, 0                                      // 000000004EA8: 7F680280
	v_mov_b32_e32 v181, 0                                      // 000000004EAC: 7F6A0280
	v_mov_b32_e32 v182, 0                                      // 000000004EB0: 7F6C0280
	v_mov_b32_e32 v183, 0                                      // 000000004EB4: 7F6E0280
	v_mov_b32_e32 v184, 0                                      // 000000004EB8: 7F700280
	v_mov_b32_e32 v185, 0                                      // 000000004EBC: 7F720280

0000000000004ec0 <label_0430>:
	ds_write_b32 v13, v178                                     // 000000004EC0: D81A0000 0000B20D
	ds_write_b32 v13, v179 offset:1056                         // 000000004EC8: D81A0420 0000B30D
	ds_write_b32 v13, v180 offset:2176                         // 000000004ED0: D81A0880 0000B40D
	ds_write_b32 v13, v181 offset:3232                         // 000000004ED8: D81A0CA0 0000B50D
	ds_write_b32 v13, v182 offset:4352                         // 000000004EE0: D81A1100 0000B60D
	ds_write_b32 v13, v183 offset:5408                         // 000000004EE8: D81A1520 0000B70D
	ds_write_b32 v13, v184 offset:6528                         // 000000004EF0: D81A1980 0000B80D
	ds_write_b32 v13, v185 offset:7584                         // 000000004EF8: D81A1DA0 0000B90D
	s_mov_b32 s71, s5                                          // 000000004F00: BEC70005
	v_lshrrev_b32_e32 v32, 4, v0                               // 000000004F04: 20400084
	v_and_b32_e32 v33, 1, v32                                  // 000000004F08: 26424081
	v_lshlrev_b32_e32 v33, 1, v33                              // 000000004F0C: 24424281
	v_mul_i32_i24_e32 v33, s71, v33                            // 000000004F10: 0C424247
	v_and_b32_e32 v34, 2, v32                                  // 000000004F14: 26444082
	v_lshlrev_b32_e32 v34, 5, v34                              // 000000004F18: 24444485
	v_add_u32_e32 v33, v34, v33                                // 000000004F1C: 68424322
	v_and_b32_e32 v32, 15, v0                                  // 000000004F20: 2640008F
	v_lshlrev_b32_e32 v32, 2, v32                              // 000000004F24: 24404082
	v_add_u32_e32 v1, v32, v33                                 // 000000004F28: 68024320
	s_mul_i32 s60, s46, s71                                    // 000000004F2C: 923C472E
	s_mul_i32 s60, s60, 4                                      // 000000004F30: 923C843C
	v_add_u32_e32 v1, s60, v1                                  // 000000004F34: 6802023C
	v_add_u32_e32 v2, s71, v1                                  // 000000004F38: 68040247
	s_mul_i32 s60, 16, s71                                     // 000000004F3C: 923C4790
	v_add_u32_e32 v3, s60, v1                                  // 000000004F40: 6806023C
	v_add_u32_e32 v4, s60, v2                                  // 000000004F44: 6808043C
	s_mov_b32 s71, s51                                         // 000000004F48: BEC70033
	v_lshrrev_b32_e32 v32, 4, v0                               // 000000004F4C: 20400084
	v_and_b32_e32 v33, 1, v32                                  // 000000004F50: 26424081
	v_lshlrev_b32_e32 v33, 1, v33                              // 000000004F54: 24424281
	v_mul_i32_i24_e32 v33, s71, v33                            // 000000004F58: 0C424247
	v_and_b32_e32 v34, 2, v32                                  // 000000004F5C: 26444082
	v_lshlrev_b32_e32 v34, 5, v34                              // 000000004F60: 24444485
	v_add_u32_e32 v33, v34, v33                                // 000000004F64: 68424322
	v_and_b32_e32 v32, 15, v0                                  // 000000004F68: 2640008F
	v_lshlrev_b32_e32 v32, 2, v32                              // 000000004F6C: 24404082
	v_add_u32_e32 v231, v32, v33                               // 000000004F70: 69CE4320
	s_mul_i32 s60, s46, s71                                    // 000000004F74: 923C472E
	s_mul_i32 s60, s60, 4                                      // 000000004F78: 923C843C
	v_add_u32_e32 v231, s60, v231                              // 000000004F7C: 69CFCE3C
	v_add_u32_e32 v232, s71, v231                              // 000000004F80: 69D1CE47
	s_mul_i32 s60, 16, s71                                     // 000000004F84: 923C4790
	v_add_u32_e32 v233, s60, v231                              // 000000004F88: 69D3CE3C
	v_add_u32_e32 v234, s60, v232                              // 000000004F8C: 69D5D03C
	v_lshrrev_b32_e32 v1, 2, v1                                // 000000004F90: 20020282
	v_lshrrev_b32_e32 v2, 2, v2                                // 000000004F94: 20040482
	v_lshrrev_b32_e32 v3, 2, v3                                // 000000004F98: 20060682
	v_lshrrev_b32_e32 v4, 2, v4                                // 000000004F9C: 20080882
	v_lshrrev_b32_e32 v231, 2, v231                            // 000000004FA0: 21CFCE82
	v_lshrrev_b32_e32 v232, 2, v232                            // 000000004FA4: 21D1D082
	v_lshrrev_b32_e32 v233, 2, v233                            // 000000004FA8: 21D3D282
	v_lshrrev_b32_e32 v234, 2, v234                            // 000000004FAC: 21D5D482
	buffer_load_dword v36, v1, s[8:11], 0 idxen                // 000000004FB0: E0502000 80022401
	buffer_load_dword v37, v2, s[8:11], 0 idxen                // 000000004FB8: E0502000 80022502
	buffer_load_dword v38, v3, s[8:11], 0 idxen                // 000000004FC0: E0502000 80022603
	buffer_load_dword v39, v4, s[8:11], 0 idxen                // 000000004FC8: E0502000 80022704
	buffer_load_dword v44, v231, s[20:23], 0 idxen             // 000000004FD0: E0502000 80052CE7
	buffer_load_dword v45, v232, s[20:23], 0 idxen             // 000000004FD8: E0502000 80052DE8
	buffer_load_dword v46, v233, s[20:23], 0 idxen             // 000000004FE0: E0502000 80052EE9
	buffer_load_dword v47, v234, s[20:23], 0 idxen             // 000000004FE8: E0502000 80052FEA
	s_waitcnt lgkmcnt(0)                                       // 000000004FF0: BF8CC07F
	s_barrier                                                  // 000000004FF4: BF8A0000
	ds_read_b128 a[72:75], v24                                 // 000000004FF8: DBFE0000 48000018
	ds_read_b128 a[76:79], v24 offset:512                      // 000000005000: DBFE0200 4C000018
	v_add_u32_e32 v1, s68, v1                                  // 000000005008: 68020244
	v_add_u32_e32 v2, s68, v2                                  // 00000000500C: 68040444
	v_add_u32_e32 v3, s68, v3                                  // 000000005010: 68060644
	v_add_u32_e32 v4, s68, v4                                  // 000000005014: 68080844
	v_add_u32_e32 v231, s81, v231                              // 000000005018: 69CFCE51
	v_add_u32_e32 v232, s81, v232                              // 00000000501C: 69D1D051
	v_add_u32_e32 v233, s81, v233                              // 000000005020: 69D3D251
	v_add_u32_e32 v234, s81, v234                              // 000000005024: 69D5D451
	s_waitcnt vmcnt(16) lgkmcnt(0)                             // 000000005028: BF8C4070
	s_barrier                                                  // 00000000502C: BF8A0000
	s_cmp_lt_i32 1, s73                                        // 000000005030: BF044981
	s_cbranch_scc1 label_0496                                  // 000000005034: BF850008
	v_mov_b32_e32 v186, 0                                      // 000000005038: 7F740280
	v_mov_b32_e32 v187, 0                                      // 00000000503C: 7F760280
	v_mov_b32_e32 v188, 0                                      // 000000005040: 7F780280
	v_mov_b32_e32 v189, 0                                      // 000000005044: 7F7A0280
	v_mov_b32_e32 v190, 0                                      // 000000005048: 7F7C0280
	v_mov_b32_e32 v191, 0                                      // 00000000504C: 7F7E0280
	v_mov_b32_e32 v192, 0                                      // 000000005050: 7F800280
	v_mov_b32_e32 v193, 0                                      // 000000005054: 7F820280

0000000000005058 <label_0496>:
	ds_write_b32 v13, v186                                     // 000000005058: D81A0000 0000BA0D
	ds_write_b32 v13, v187 offset:1056                         // 000000005060: D81A0420 0000BB0D
	ds_write_b32 v13, v188 offset:2176                         // 000000005068: D81A0880 0000BC0D
	ds_write_b32 v13, v189 offset:3232                         // 000000005070: D81A0CA0 0000BD0D
	ds_write_b32 v13, v190 offset:4352                         // 000000005078: D81A1100 0000BE0D
	ds_write_b32 v13, v191 offset:5408                         // 000000005080: D81A1520 0000BF0D
	ds_write_b32 v13, v192 offset:6528                         // 000000005088: D81A1980 0000C00D
	ds_write_b32 v13, v193 offset:7584                         // 000000005090: D81A1DA0 0000C10D
	buffer_load_dword v40, v1, s[8:11], 0 idxen                // 000000005098: E0502000 80022801
	buffer_load_dword v41, v2, s[8:11], 0 idxen                // 0000000050A0: E0502000 80022902
	buffer_load_dword v42, v3, s[8:11], 0 idxen                // 0000000050A8: E0502000 80022A03
	buffer_load_dword v43, v4, s[8:11], 0 idxen                // 0000000050B0: E0502000 80022B04
	buffer_load_dword v48, v231, s[20:23], 0 idxen             // 0000000050B8: E0502000 800530E7
	buffer_load_dword v49, v232, s[20:23], 0 idxen             // 0000000050C0: E0502000 800531E8
	buffer_load_dword v50, v233, s[20:23], 0 idxen             // 0000000050C8: E0502000 800532E9
	buffer_load_dword v51, v234, s[20:23], 0 idxen             // 0000000050D0: E0502000 800533EA
	s_waitcnt lgkmcnt(0)                                       // 0000000050D8: BF8CC07F
	s_barrier                                                  // 0000000050DC: BF8A0000
	ds_read_b128 a[80:83], v24                                 // 0000000050E0: DBFE0000 50000018
	ds_read_b128 a[84:87], v24 offset:512                      // 0000000050E8: DBFE0200 54000018
	s_add_u32 s60, 64, s59                                     // 0000000050F0: 803C3BC0
	s_cmp_lt_u32 s60, s58                                      // 0000000050F4: BF0A3A3C
	s_cselect_b32 s68, s68, 0                                  // 0000000050F8: 85448044
	s_cselect_b32 s81, s81, 0                                  // 0000000050FC: 85518051
	v_add_u32_e32 v1, s68, v1                                  // 000000005100: 68020244
	v_add_u32_e32 v2, s68, v2                                  // 000000005104: 68040444
	;; [unrolled: 1-line block ×3, first 2 shown]
	v_add_u32_e32 v4, s68, v4                                  // 00000000510C: 68080844
	v_add_u32_e32 v231, s81, v231                              // 000000005110: 69CFCE51
	v_add_u32_e32 v232, s81, v232                              // 000000005114: 69D1D051
	v_add_u32_e32 v233, s81, v233                              // 000000005118: 69D3D251
	v_add_u32_e32 v234, s81, v234                              // 00000000511C: 69D5D451
	s_waitcnt vmcnt(16) lgkmcnt(0)                             // 000000005120: BF8C4070
	s_barrier                                                  // 000000005124: BF8A0000
	s_cmp_lt_i32 2, s73                                        // 000000005128: BF044982
	s_cbranch_scc1 label_04D4                                  // 00000000512C: BF850008
	v_mov_b32_e32 v194, 0                                      // 000000005130: 7F840280
	v_mov_b32_e32 v195, 0                                      // 000000005134: 7F860280
	v_mov_b32_e32 v196, 0                                      // 000000005138: 7F880280
	v_mov_b32_e32 v197, 0                                      // 00000000513C: 7F8A0280
	v_mov_b32_e32 v198, 0                                      // 000000005140: 7F8C0280
	v_mov_b32_e32 v199, 0                                      // 000000005144: 7F8E0280
	v_mov_b32_e32 v200, 0                                      // 000000005148: 7F900280
	v_mov_b32_e32 v201, 0                                      // 00000000514C: 7F920280

0000000000005150 <label_04D4>:
	ds_write_b32 v13, v194                                     // 000000005150: D81A0000 0000C20D
	ds_write_b32 v13, v195 offset:1056                         // 000000005158: D81A0420 0000C30D
	ds_write_b32 v13, v196 offset:2176                         // 000000005160: D81A0880 0000C40D
	ds_write_b32 v13, v197 offset:3232                         // 000000005168: D81A0CA0 0000C50D
	ds_write_b32 v13, v198 offset:4352                         // 000000005170: D81A1100 0000C60D
	ds_write_b32 v13, v199 offset:5408                         // 000000005178: D81A1520 0000C70D
	ds_write_b32 v13, v200 offset:6528                         // 000000005180: D81A1980 0000C80D
	ds_write_b32 v13, v201 offset:7584                         // 000000005188: D81A1DA0 0000C90D
	s_waitcnt lgkmcnt(0)                                       // 000000005190: BF8CC07F
	s_barrier                                                  // 000000005194: BF8A0000
	ds_read_b128 a[88:91], v24                                 // 000000005198: DBFE0000 58000018
	ds_read_b128 a[92:95], v24 offset:512                      // 0000000051A0: DBFE0200 5C000018
	s_waitcnt vmcnt(8) lgkmcnt(0)                              // 0000000051A8: BF8C0078
	s_barrier                                                  // 0000000051AC: BF8A0000
	buffer_load_dword v11, s[24:27], 0 idxen lds               // 0000000051B0: E0512000 8006000B
	s_mov_b32 m0, s77                                          // 0000000051B8: BEFC004D
	v_add_u32_e32 v11, s69, v11                                // 0000000051BC: 68161645
	v_perm_b32 v100, v37, v36, s63                             // 0000000051C0: D1ED0064 00FE4925
	v_perm_b32 v101, v37, v36, s64                             // 0000000051C8: D1ED0065 01024925
	v_perm_b32 v102, v39, v38, s63                             // 0000000051D0: D1ED0066 00FE4D27
	v_perm_b32 v103, v39, v38, s64                             // 0000000051D8: D1ED0067 01024D27
	ds_write_b32 v15, v100 offset:4352                         // 0000000051E0: D81A1100 0000640F
	ds_write_b32 v15, v101 offset:5408                         // 0000000051E8: D81A1520 0000650F
	ds_write_b32 v15, v102 offset:6528                         // 0000000051F0: D81A1980 0000660F
	ds_write_b32 v15, v103 offset:7584                         // 0000000051F8: D81A1DA0 0000670F
	ds_write_b32 v13, v36                                      // 000000005200: D81A0000 0000240D
	ds_write_b32 v13, v37 offset:1056                          // 000000005208: D81A0420 0000250D
	ds_write_b32 v13, v38 offset:2176                          // 000000005210: D81A0880 0000260D
	ds_write_b32 v13, v39 offset:3232                          // 000000005218: D81A0CA0 0000270D
	buffer_load_dword v11, s[24:27], 0 idxen lds               // 000000005220: E0512000 8006000B
	s_add_u32 s60, 64, s59                                     // 000000005228: 803C3BC0
	s_cmp_lt_u32 s60, s58                                      // 00000000522C: BF0A3A3C
	s_cselect_b32 s69, s69, 0                                  // 000000005230: 85458045
	s_mov_b32 m0, s76                                          // 000000005234: BEFC004C
	v_add_u32_e32 v11, s69, v11                                // 000000005238: 68161645
	v_perm_b32 v104, v45, v44, s63                             // 00000000523C: D1ED0068 00FE592D
	v_perm_b32 v105, v45, v44, s64                             // 000000005244: D1ED0069 0102592D
	v_perm_b32 v106, v47, v46, s63                             // 00000000524C: D1ED006A 00FE5D2F
	v_perm_b32 v107, v47, v46, s64                             // 000000005254: D1ED006B 01025D2F
	ds_write_b32 v15, v104 offset:13056                        // 00000000525C: D81A3300 0000680F
	ds_write_b32 v15, v105 offset:14112                        // 000000005264: D81A3720 0000690F
	ds_write_b32 v15, v106 offset:15232                        // 00000000526C: D81A3B80 00006A0F
	ds_write_b32 v15, v107 offset:16288                        // 000000005274: D81A3FA0 00006B0F
	ds_write_b32 v13, v44 offset:8704                          // 00000000527C: D81A2200 00002C0D
	ds_write_b32 v13, v45 offset:9760                          // 000000005284: D81A2620 00002D0D
	ds_write_b32 v13, v46 offset:10880                         // 00000000528C: D81A2A80 00002E0D
	ds_write_b32 v13, v47 offset:11936                         // 000000005294: D81A2EA0 00002F0D
	s_waitcnt vmcnt(1) lgkmcnt(0)                              // 00000000529C: BF8C0071
	s_barrier                                                  // 0000000052A0: BF8A0000
	ds_read_b128 a[96:99], v12                                 // 0000000052A4: DBFE0000 6000000C
	ds_read_b128 a[100:103], v12 offset:512                    // 0000000052AC: DBFE0200 6400000C
	ds_read_b128 a[104:107], v12 offset:2176                   // 0000000052B4: DBFE0880 6800000C
	ds_read_b128 a[108:111], v12 offset:2688                   // 0000000052BC: DBFE0A80 6C00000C
	ds_read_b128 v[108:111], v12 offset:8704                   // 0000000052C4: D9FE2200 6C00000C
	ds_read_b128 v[112:115], v12 offset:9216                   // 0000000052CC: D9FE2400 7000000C
	ds_read_b128 v[116:119], v12 offset:10880                  // 0000000052D4: D9FE2A80 7400000C
	ds_read_b128 v[120:123], v12 offset:11392                  // 0000000052DC: D9FE2C80 7800000C
	ds_read_b32 v140, v23 offset:39424                         // 0000000052E4: D86C9A00 8C000017
	ds_read_b32 v144, v23 offset:39488                         // 0000000052EC: D86C9A40 90000017
	ds_read_b32 v176, v23 offset:39680                         // 0000000052F4: D86C9B00 B0000017
	ds_read_b32 v177, v23 offset:39744                         // 0000000052FC: D86C9B40 B1000017
	v_accvgpr_write_b32 a112, 0                                // 000000005304: D3D94070 18000080
	v_mov_b32_e32 v178, 0                                      // 00000000530C: 7F640280
	v_accvgpr_write_b32 a113, 0                                // 000000005310: D3D94071 18000080
	v_mov_b32_e32 v179, 0                                      // 000000005318: 7F660280
	v_accvgpr_write_b32 a114, 0                                // 00000000531C: D3D94072 18000080
	v_mov_b32_e32 v180, 0                                      // 000000005324: 7F680280
	v_accvgpr_write_b32 a115, 0                                // 000000005328: D3D94073 18000080
	v_mov_b32_e32 v181, 0                                      // 000000005330: 7F6A0280
	v_accvgpr_write_b32 a116, 0                                // 000000005334: D3D94074 18000080
	v_mov_b32_e32 v182, 0                                      // 00000000533C: 7F6C0280
	v_accvgpr_write_b32 a117, 0                                // 000000005340: D3D94075 18000080
	v_mov_b32_e32 v183, 0                                      // 000000005348: 7F6E0280
	v_accvgpr_write_b32 a118, 0                                // 00000000534C: D3D94076 18000080
	v_mov_b32_e32 v184, 0                                      // 000000005354: 7F700280
	v_accvgpr_write_b32 a119, 0                                // 000000005358: D3D94077 18000080
	v_mov_b32_e32 v185, 0                                      // 000000005360: 7F720280
	v_accvgpr_write_b32 a120, 0                                // 000000005364: D3D94078 18000080
	v_mov_b32_e32 v186, 0                                      // 00000000536C: 7F740280
	v_accvgpr_write_b32 a121, 0                                // 000000005370: D3D94079 18000080
	v_mov_b32_e32 v187, 0                                      // 000000005378: 7F760280
	v_accvgpr_write_b32 a122, 0                                // 00000000537C: D3D9407A 18000080
	v_mov_b32_e32 v188, 0                                      // 000000005384: 7F780280
	v_accvgpr_write_b32 a123, 0                                // 000000005388: D3D9407B 18000080
	v_mov_b32_e32 v189, 0                                      // 000000005390: 7F7A0280
	v_accvgpr_write_b32 a124, 0                                // 000000005394: D3D9407C 18000080
	v_mov_b32_e32 v190, 0                                      // 00000000539C: 7F7C0280
	v_accvgpr_write_b32 a125, 0                                // 0000000053A0: D3D9407D 18000080
	v_mov_b32_e32 v191, 0                                      // 0000000053A8: 7F7E0280
	v_accvgpr_write_b32 a126, 0                                // 0000000053AC: D3D9407E 18000080
	v_mov_b32_e32 v192, 0                                      // 0000000053B4: 7F800280
	v_accvgpr_write_b32 a127, 0                                // 0000000053B8: D3D9407F 18000080
	v_mov_b32_e32 v193, 0                                      // 0000000053C0: 7F820280
	v_accvgpr_write_b32 a128, 0                                // 0000000053C4: D3D94080 18000080
	v_mov_b32_e32 v194, 0                                      // 0000000053CC: 7F840280
	v_accvgpr_write_b32 a129, 0                                // 0000000053D0: D3D94081 18000080
	v_mov_b32_e32 v195, 0                                      // 0000000053D8: 7F860280
	v_accvgpr_write_b32 a130, 0                                // 0000000053DC: D3D94082 18000080
	v_mov_b32_e32 v196, 0                                      // 0000000053E4: 7F880280
	v_accvgpr_write_b32 a131, 0                                // 0000000053E8: D3D94083 18000080
	v_mov_b32_e32 v197, 0                                      // 0000000053F0: 7F8A0280
	v_accvgpr_write_b32 a132, 0                                // 0000000053F4: D3D94084 18000080
	v_mov_b32_e32 v198, 0                                      // 0000000053FC: 7F8C0280
	v_accvgpr_write_b32 a133, 0                                // 000000005400: D3D94085 18000080
	v_mov_b32_e32 v199, 0                                      // 000000005408: 7F8E0280
	v_accvgpr_write_b32 a134, 0                                // 00000000540C: D3D94086 18000080
	v_mov_b32_e32 v200, 0                                      // 000000005414: 7F900280
	v_accvgpr_write_b32 a135, 0                                // 000000005418: D3D94087 18000080
	v_mov_b32_e32 v201, 0                                      // 000000005420: 7F920280
	v_accvgpr_write_b32 a136, 0                                // 000000005424: D3D94088 18000080
	v_mov_b32_e32 v202, 0                                      // 00000000542C: 7F940280
	v_accvgpr_write_b32 a137, 0                                // 000000005430: D3D94089 18000080
	v_mov_b32_e32 v203, 0                                      // 000000005438: 7F960280
	v_accvgpr_write_b32 a138, 0                                // 00000000543C: D3D9408A 18000080
	v_mov_b32_e32 v204, 0                                      // 000000005444: 7F980280
	v_accvgpr_write_b32 a139, 0                                // 000000005448: D3D9408B 18000080
	v_mov_b32_e32 v205, 0                                      // 000000005450: 7F9A0280
	v_accvgpr_write_b32 a140, 0                                // 000000005454: D3D9408C 18000080
	v_mov_b32_e32 v206, 0                                      // 00000000545C: 7F9C0280
	v_accvgpr_write_b32 a141, 0                                // 000000005460: D3D9408D 18000080
	v_mov_b32_e32 v207, 0                                      // 000000005468: 7F9E0280
	v_accvgpr_write_b32 a142, 0                                // 00000000546C: D3D9408E 18000080
	v_mov_b32_e32 v208, 0                                      // 000000005474: 7FA00280
	v_accvgpr_write_b32 a143, 0                                // 000000005478: D3D9408F 18000080
	v_mov_b32_e32 v209, 0                                      // 000000005480: 7FA20280
	v_accvgpr_write_b32 a144, 0                                // 000000005484: D3D94090 18000080
	v_mov_b32_e32 v210, 0                                      // 00000000548C: 7FA40280
	v_accvgpr_write_b32 a145, 0                                // 000000005490: D3D94091 18000080
	v_mov_b32_e32 v211, 0                                      // 000000005498: 7FA60280
	v_accvgpr_write_b32 a146, 0                                // 00000000549C: D3D94092 18000080
	v_mov_b32_e32 v212, 0                                      // 0000000054A4: 7FA80280
	v_accvgpr_write_b32 a147, 0                                // 0000000054A8: D3D94093 18000080
	v_mov_b32_e32 v213, 0                                      // 0000000054B0: 7FAA0280
	v_accvgpr_write_b32 a148, 0                                // 0000000054B4: D3D94094 18000080
	v_mov_b32_e32 v214, 0                                      // 0000000054BC: 7FAC0280
	v_accvgpr_write_b32 a149, 0                                // 0000000054C0: D3D94095 18000080
	v_mov_b32_e32 v215, 0                                      // 0000000054C8: 7FAE0280
	v_accvgpr_write_b32 a150, 0                                // 0000000054CC: D3D94096 18000080
	v_mov_b32_e32 v216, 0                                      // 0000000054D4: 7FB00280
	v_accvgpr_write_b32 a151, 0                                // 0000000054D8: D3D94097 18000080
	v_mov_b32_e32 v217, 0                                      // 0000000054E0: 7FB20280
	v_accvgpr_write_b32 a152, 0                                // 0000000054E4: D3D94098 18000080
	v_mov_b32_e32 v218, 0                                      // 0000000054EC: 7FB40280
	v_accvgpr_write_b32 a153, 0                                // 0000000054F0: D3D94099 18000080
	v_mov_b32_e32 v219, 0                                      // 0000000054F8: 7FB60280
	v_accvgpr_write_b32 a154, 0                                // 0000000054FC: D3D9409A 18000080
	v_mov_b32_e32 v220, 0                                      // 000000005504: 7FB80280
	v_accvgpr_write_b32 a155, 0                                // 000000005508: D3D9409B 18000080
	v_mov_b32_e32 v221, 0                                      // 000000005510: 7FBA0280
	v_accvgpr_write_b32 a156, 0                                // 000000005514: D3D9409C 18000080
	v_mov_b32_e32 v222, 0                                      // 00000000551C: 7FBC0280
	v_accvgpr_write_b32 a157, 0                                // 000000005520: D3D9409D 18000080
	v_mov_b32_e32 v223, 0                                      // 000000005528: 7FBE0280
	v_accvgpr_write_b32 a158, 0                                // 00000000552C: D3D9409E 18000080
	v_mov_b32_e32 v224, 0                                      // 000000005534: 7FC00280
	v_accvgpr_write_b32 a159, 0                                // 000000005538: D3D9409F 18000080
	v_mov_b32_e32 v225, 0                                      // 000000005540: 7FC20280
	v_mov_b32_e32 v156, 0                                      // 000000005544: 7F380280
	v_mov_b32_e32 v157, 0                                      // 000000005548: 7F3A0280
	v_mov_b32_e32 v158, 0                                      // 00000000554C: 7F3C0280
	v_mov_b32_e32 v159, 0                                      // 000000005550: 7F3E0280
	v_mov_b32_e32 v160, 0                                      // 000000005554: 7F400280
	v_mov_b32_e32 v161, 0                                      // 000000005558: 7F420280
	v_mov_b32_e32 v162, 0                                      // 00000000555C: 7F440280
	v_mov_b32_e32 v163, 0                                      // 000000005560: 7F460280
	v_mov_b32_e32 v148, 0                                      // 000000005564: 7F280280
	v_mov_b32_e32 v149, 0                                      // 000000005568: 7F2A0280
	v_mov_b32_e32 v150, 0                                      // 00000000556C: 7F2C0280
	v_mov_b32_e32 v151, 0                                      // 000000005570: 7F2E0280
	v_mov_b32_e32 v152, 0                                      // 000000005574: 7F300280
	v_mov_b32_e32 v153, 0                                      // 000000005578: 7F320280
	v_mov_b32_e32 v154, 0                                      // 00000000557C: 7F340280
	v_mov_b32_e32 v155, 0                                      // 000000005580: 7F360280
	s_waitcnt lgkmcnt(0)                                       // 000000005584: BF8CC07F
	s_barrier                                                  // 000000005588: BF8A0000
	buffer_load_dword v36, v1, s[8:11], 0 idxen                // 00000000558C: E0502000 80022401
	buffer_load_dword v37, v2, s[8:11], 0 idxen                // 000000005594: E0502000 80022502
	buffer_load_dword v38, v3, s[8:11], 0 idxen                // 00000000559C: E0502000 80022603
	buffer_load_dword v39, v4, s[8:11], 0 idxen                // 0000000055A4: E0502000 80022704
	buffer_load_dword v44, v231, s[20:23], 0 idxen             // 0000000055AC: E0502000 80052CE7
	buffer_load_dword v45, v232, s[20:23], 0 idxen             // 0000000055B4: E0502000 80052DE8
	buffer_load_dword v46, v233, s[20:23], 0 idxen             // 0000000055BC: E0502000 80052EE9
	buffer_load_dword v47, v234, s[20:23], 0 idxen             // 0000000055C4: E0502000 80052FEA
	buffer_load_dword v11, s[24:27], 0 idxen lds               // 0000000055CC: E0512000 8006000B
	s_add_u32 s60, 0x60, s59                                   // 0000000055D4: 803C3BFF 00000060
	s_cmp_lt_u32 s60, s58                                      // 0000000055DC: BF0A3A3C
	s_cselect_b32 s68, s68, 0                                  // 0000000055E0: 85448044
	s_cselect_b32 s81, s81, 0                                  // 0000000055E4: 85518051
	s_cselect_b32 s69, s69, 0                                  // 0000000055E8: 85458045
	s_mov_b32 m0, s77                                          // 0000000055EC: BEFC004D
	v_add_u32_e32 v11, s69, v11                                // 0000000055F0: 68161645
	v_add_u32_e32 v1, s68, v1                                  // 0000000055F4: 68020244
	v_add_u32_e32 v2, s68, v2                                  // 0000000055F8: 68040444
	v_add_u32_e32 v3, s68, v3                                  // 0000000055FC: 68060644
	v_add_u32_e32 v4, s68, v4                                  // 000000005600: 68080844
	v_add_u32_e32 v231, s81, v231                              // 000000005604: 69CFCE51
	v_add_u32_e32 v232, s81, v232                              // 000000005608: 69D1D051
	v_add_u32_e32 v233, s81, v233                              // 00000000560C: 69D3D251
	v_add_u32_e32 v234, s81, v234                              // 000000005610: 69D5D451
	v_mul_f32_e32 v140, s48, v140                              // 000000005614: 0B191830
	v_mul_f32_e32 v144, s48, v144                              // 000000005618: 0B212030
	v_perm_b32 v100, v41, v40, s63                             // 00000000561C: D1ED0064 00FE5129
	v_perm_b32 v101, v41, v40, s64                             // 000000005624: D1ED0065 01025129
	v_perm_b32 v102, v43, v42, s63                             // 00000000562C: D1ED0066 00FE552B
	v_perm_b32 v103, v43, v42, s64                             // 000000005634: D1ED0067 0102552B
	v_perm_b32 v104, v49, v48, s63                             // 00000000563C: D1ED0068 00FE6131
	v_perm_b32 v105, v49, v48, s64                             // 000000005644: D1ED0069 01026131
	v_perm_b32 v106, v51, v50, s63                             // 00000000564C: D1ED006A 00FE6533
	v_perm_b32 v107, v51, v50, s64                             // 000000005654: D1ED006B 01026533
	v_mov_b32_dpp v143, v140 quad_perm:[3,3,3,3] row_mask:0xf bank_mask:0xf// 00000000565C: 7F1E02FA FF00FF8C
	v_mov_b32_dpp v142, v140 quad_perm:[2,2,2,2] row_mask:0xf bank_mask:0xf// 000000005664: 7F1C02FA FF00AA8C
	v_mov_b32_dpp v141, v140 quad_perm:[1,1,1,1] row_mask:0xf bank_mask:0xf// 00000000566C: 7F1A02FA FF00558C
	v_mov_b32_dpp v140, v140 quad_perm:[0,0,0,0] row_mask:0xf bank_mask:0xf// 000000005674: 7F1802FA FF00008C
	v_mov_b32_dpp v147, v144 quad_perm:[3,3,3,3] row_mask:0xf bank_mask:0xf// 00000000567C: 7F2602FA FF00FF90
	v_mov_b32_dpp v146, v144 quad_perm:[2,2,2,2] row_mask:0xf bank_mask:0xf// 000000005684: 7F2402FA FF00AA90
	v_mov_b32_dpp v145, v144 quad_perm:[1,1,1,1] row_mask:0xf bank_mask:0xf// 00000000568C: 7F2202FA FF005590
	v_mov_b32_dpp v144, v144 quad_perm:[0,0,0,0] row_mask:0xf bank_mask:0xf// 000000005694: 7F2002FA FF000090
	s_waitcnt vmcnt(9)                                         // 00000000569C: BF8C0F79
	s_barrier                                                  // 0000000056A0: BF8A0000
	s_cmp_lt_i32 s46, 2                                        // 0000000056A4: BF04822E
	s_cbranch_scc0 label_0F05                                  // 0000000056A8: BF8408C8
	s_nop 0                                                    // 0000000056AC: BF800000
	s_nop 0                                                    // 0000000056B0: BF800000

00000000000056b4 <label_062D>:
	s_waitcnt lgkmcnt(4)                                       // 0000000056B4: BF8CC47F
	s_barrier                                                  // 0000000056B8: BF8A0000
	v_mfma_f32_16x16x16_bf16 v[52:55], a[96:97], a[0:1], 0     // 0000000056BC: D3E10034 1A020160
	ds_write_b32 v13, v48 offset:8704                          // 0000000056C4: D81A2200 0000300D
	ds_write_b32 v13, v49 offset:9760                          // 0000000056CC: D81A2620 0000310D
	v_mfma_f32_16x16x16_bf16 v[52:55], a[98:99], a[2:3], v[52:55]// 0000000056D4: D3E10034 1CD20562
	v_mul_f32_e32 v148, s47, v148                              // 0000000056DC: 0B29282F
	v_mul_f32_e32 v149, s47, v149                              // 0000000056E0: 0B2B2A2F
	v_mfma_f32_16x16x16_bf16 v[52:55], a[100:101], a[4:5], v[52:55]// 0000000056E4: D3E10034 1CD20964
	ds_write_b32 v13, v50 offset:10880                         // 0000000056EC: D81A2A80 0000320D
	ds_write_b32 v13, v51 offset:11936                         // 0000000056F4: D81A2EA0 0000330D
	v_mfma_f32_16x16x16_bf16 v[52:55], a[102:103], a[6:7], v[52:55]// 0000000056FC: D3E10034 1CD20D66
	v_mul_f32_e32 v150, s47, v150                              // 000000005704: 0B2D2C2F
	v_mul_f32_e32 v151, s47, v151                              // 000000005708: 0B2F2E2F
	v_mfma_f32_16x16x16_bf16 v[56:59], a[96:97], a[8:9], 0     // 00000000570C: D3E10038 1A021160
	ds_write_b64 v22, v[148:149] offset:31232                  // 000000005714: D89A7A00 00009416
	v_mfma_f32_16x16x16_bf16 v[56:59], a[98:99], a[10:11], v[56:59]// 00000000571C: D3E10038 1CE21562
	v_mul_f32_e32 v152, s47, v152                              // 000000005724: 0B31302F
	v_mul_f32_e32 v153, s47, v153                              // 000000005728: 0B33322F
	v_mfma_f32_16x16x16_bf16 v[56:59], a[100:101], a[12:13], v[56:59]// 00000000572C: D3E10038 1CE21964
	ds_write_b64 v22, v[150:151] offset:31744                  // 000000005734: D89A7C00 00009616
	v_mfma_f32_16x16x16_bf16 v[56:59], a[102:103], a[14:15], v[56:59]// 00000000573C: D3E10038 1CE21D66
	v_mul_f32_e32 v154, s47, v154                              // 000000005744: 0B35342F
	v_mul_f32_e32 v155, s47, v155                              // 000000005748: 0B37362F
	v_mfma_f32_16x16x16_bf16 v[60:63], a[96:97], a[16:17], 0   // 00000000574C: D3E1003C 1A022160
	ds_write_b64 v22, v[152:153] offset:32256                  // 000000005754: D89A7E00 00009816
	v_mfma_f32_16x16x16_bf16 v[60:63], a[98:99], a[18:19], v[60:63]// 00000000575C: D3E1003C 1CF22562
	buffer_atomic_add_f32 v160, v8, s[32:35], 0 idxen          // 000000005764: E1342000 8008A008
	v_mfma_f32_16x16x16_bf16 v[60:63], a[100:101], a[20:21], v[60:63]// 00000000576C: D3E1003C 1CF22964
	ds_write_b64 v22, v[154:155] offset:32768                  // 000000005774: D89A8000 00009A16
	v_mfma_f32_16x16x16_bf16 v[60:63], a[102:103], a[22:23], v[60:63]// 00000000577C: D3E1003C 1CF22D66
	v_mfma_f32_16x16x16_bf16 v[64:67], a[104:105], a[0:1], 0   // 000000005784: D3E10040 1A020168
	ds_read_b128 v[124:127], v14 offset:13056                  // 00000000578C: D9FE3300 7C00000E
	ds_write_b32 v13, v40                                      // 000000005794: D81A0000 0000280D
	v_mfma_f32_16x16x16_bf16 v[64:67], a[106:107], a[2:3], v[64:67]// 00000000579C: D3E10040 1D02056A
	buffer_atomic_add_f32 v161, v9, s[32:35], 0 idxen          // 0000000057A4: E1342000 8008A109
	v_mfma_f32_16x16x16_bf16 v[64:67], a[108:109], a[4:5], v[64:67]// 0000000057AC: D3E10040 1D02096C
	v_mfma_f32_16x16x16_bf16 v[64:67], a[110:111], a[6:7], v[64:67]// 0000000057B4: D3E10040 1D020D6E
	ds_read_b128 v[128:131], v14 offset:13568                  // 0000000057BC: D9FE3500 8000000E
	ds_write_b32 v13, v41 offset:1056                          // 0000000057C4: D81A0420 0000290D
	v_mfma_f32_16x16x16_bf16 v[68:71], a[104:105], a[8:9], 0   // 0000000057CC: D3E10044 1A021168
	buffer_atomic_add_f32 v162, v8, s[32:35], 0 idxen offset:128// 0000000057D4: E1342080 8008A208
	v_mfma_f32_16x16x16_bf16 v[68:71], a[106:107], a[10:11], v[68:71]// 0000000057DC: D3E10044 1D12156A
	v_mfma_f32_16x16x16_bf16 v[68:71], a[108:109], a[12:13], v[68:71]// 0000000057E4: D3E10044 1D12196C
	ds_read_b128 v[132:135], v14 offset:15232                  // 0000000057EC: D9FE3B80 8400000E
	ds_write_b32 v13, v42 offset:2176                          // 0000000057F4: D81A0880 00002A0D
	v_mfma_f32_16x16x16_bf16 v[68:71], a[110:111], a[14:15], v[68:71]// 0000000057FC: D3E10044 1D121D6E
	v_mfma_f32_16x16x16_bf16 v[72:75], a[104:105], a[16:17], 0 // 000000005804: D3E10048 1A022168
	buffer_atomic_add_f32 v163, v9, s[32:35], 0 idxen offset:128// 00000000580C: E1342080 8008A309
	v_mfma_f32_16x16x16_bf16 v[72:75], a[106:107], a[18:19], v[72:75]// 000000005814: D3E10048 1D22256A
	ds_read_b128 v[136:139], v14 offset:15744                  // 00000000581C: D9FE3D80 8800000E
	ds_write_b32 v13, v43 offset:3232                          // 000000005824: D81A0CA0 00002B0D
	v_mfma_f32_16x16x16_bf16 v[72:75], a[108:109], a[20:21], v[72:75]// 00000000582C: D3E10048 1D22296C
	v_mfma_f32_16x16x16_bf16 v[72:75], a[110:111], a[22:23], v[72:75]// 000000005834: D3E10048 1D222D6E
	s_cmp_lt_i32 s83, 0xc0                                     // 00000000583C: BF04FF53 000000C0
	s_cbranch_scc0 label_0708                                  // 000000005844: BF84006D
	s_cmp_le_i32 s83, 64                                       // 000000005848: BF05C053
	s_cbranch_scc1 label_069B                                  // 00000000584C: BF850007
	s_cmp_le_i32 s83, 0x80                                     // 000000005850: BF05FF53 00000080
	s_cbranch_scc1 label_06BF                                  // 000000005858: BF85001F
	s_cmp_lt_i32 s83, 0xc0                                     // 00000000585C: BF04FF53 000000C0
	s_cbranch_scc1 label_06E3                                  // 000000005864: BF850040
	s_branch label_0708                                        // 000000005868: BF820064

000000000000586c <label_069B>:
	s_mov_b32 s60, 0                                           // 00000000586C: BEBC0080
	v_and_b32_e32 v32, 15, v0                                  // 000000005870: 2640008F
	v_add_u32_e64 v32, v32, s60                                // 000000005874: D1340020 00007920
	v_mul_i32_i24_e64 v33, s46, 16                             // 00000000587C: D1060021 0001202E
	v_add_u32_e32 v32, v32, v33                                // 000000005884: 68404320
	v_cmp_lt_u32_e64 s[60:61], v32, s83                        // 000000005888: D0C9003C 0000A720
	s_nop 1                                                    // 000000005890: BF800001
	v_cndmask_b32_e64 v52, v230, v52, s[60:61]                 // 000000005894: D1000034 00F269E6
	v_cndmask_b32_e64 v64, v230, v64, s[60:61]                 // 00000000589C: D1000040 00F281E6
	v_cndmask_b32_e64 v53, v230, v53, s[60:61]                 // 0000000058A4: D1000035 00F26BE6
	v_cndmask_b32_e64 v65, v230, v65, s[60:61]                 // 0000000058AC: D1000041 00F283E6
	v_cndmask_b32_e64 v54, v230, v54, s[60:61]                 // 0000000058B4: D1000036 00F26DE6
	v_cndmask_b32_e64 v66, v230, v66, s[60:61]                 // 0000000058BC: D1000042 00F285E6
	v_cndmask_b32_e64 v55, v230, v55, s[60:61]                 // 0000000058C4: D1000037 00F26FE6
	v_cndmask_b32_e64 v67, v230, v67, s[60:61]                 // 0000000058CC: D1000043 00F287E6
	s_branch label_06DA                                        // 0000000058D4: BF82001B

00000000000058d8 <label_06BF>:
	s_mov_b32 s60, 64                                          // 0000000058D8: BEBC00C0
	v_and_b32_e32 v32, 15, v0                                  // 0000000058DC: 2640008F
	v_add_u32_e64 v32, v32, s60                                // 0000000058E0: D1340020 00007920
	v_mul_i32_i24_e64 v33, s46, 16                             // 0000000058E8: D1060021 0001202E
	v_add_u32_e32 v32, v32, v33                                // 0000000058F0: 68404320
	v_cmp_lt_u32_e64 s[60:61], v32, s83                        // 0000000058F4: D0C9003C 0000A720
	s_nop 1                                                    // 0000000058FC: BF800001
	v_cndmask_b32_e64 v56, v230, v56, s[60:61]                 // 000000005900: D1000038 00F271E6
	v_cndmask_b32_e64 v68, v230, v68, s[60:61]                 // 000000005908: D1000044 00F289E6
	v_cndmask_b32_e64 v57, v230, v57, s[60:61]                 // 000000005910: D1000039 00F273E6
	v_cndmask_b32_e64 v69, v230, v69, s[60:61]                 // 000000005918: D1000045 00F28BE6
	v_cndmask_b32_e64 v58, v230, v58, s[60:61]                 // 000000005920: D100003A 00F275E6
	v_cndmask_b32_e64 v70, v230, v70, s[60:61]                 // 000000005928: D1000046 00F28DE6
	v_cndmask_b32_e64 v59, v230, v59, s[60:61]                 // 000000005930: D100003B 00F277E6
	v_cndmask_b32_e64 v71, v230, v71, s[60:61]                 // 000000005938: D1000047 00F28FE6
	s_branch label_06FF                                        // 000000005940: BF820025

0000000000005944 <label_06DA>:
	v_mov_b32_e32 v56, v230                                    // 000000005944: 7E7003E6
	v_mov_b32_e32 v68, v230                                    // 000000005948: 7E8803E6
	v_mov_b32_e32 v57, v230                                    // 00000000594C: 7E7203E6
	v_mov_b32_e32 v69, v230                                    // 000000005950: 7E8A03E6
	v_mov_b32_e32 v58, v230                                    // 000000005954: 7E7403E6
	v_mov_b32_e32 v70, v230                                    // 000000005958: 7E8C03E6
	v_mov_b32_e32 v59, v230                                    // 00000000595C: 7E7603E6
	v_mov_b32_e32 v71, v230                                    // 000000005960: 7E8E03E6
	s_branch label_06FF                                        // 000000005964: BF82001C

0000000000005968 <label_06E3>:
	s_mov_b32 s60, 0x80                                        // 000000005968: BEBC00FF 00000080
	v_and_b32_e32 v32, 15, v0                                  // 000000005970: 2640008F
	v_add_u32_e64 v32, v32, s60                                // 000000005974: D1340020 00007920
	v_mul_i32_i24_e64 v33, s46, 16                             // 00000000597C: D1060021 0001202E
	v_add_u32_e32 v32, v32, v33                                // 000000005984: 68404320
	v_cmp_lt_u32_e64 s[60:61], v32, s83                        // 000000005988: D0C9003C 0000A720
	s_nop 1                                                    // 000000005990: BF800001
	v_cndmask_b32_e64 v60, v230, v60, s[60:61]                 // 000000005994: D100003C 00F279E6
	v_cndmask_b32_e64 v72, v230, v72, s[60:61]                 // 00000000599C: D1000048 00F291E6
	v_cndmask_b32_e64 v61, v230, v61, s[60:61]                 // 0000000059A4: D100003D 00F27BE6
	v_cndmask_b32_e64 v73, v230, v73, s[60:61]                 // 0000000059AC: D1000049 00F293E6
	v_cndmask_b32_e64 v62, v230, v62, s[60:61]                 // 0000000059B4: D100003E 00F27DE6
	v_cndmask_b32_e64 v74, v230, v74, s[60:61]                 // 0000000059BC: D100004A 00F295E6
	v_cndmask_b32_e64 v63, v230, v63, s[60:61]                 // 0000000059C4: D100003F 00F27FE6
	v_cndmask_b32_e64 v75, v230, v75, s[60:61]                 // 0000000059CC: D100004B 00F297E6
	s_branch label_0708                                        // 0000000059D4: BF820009

00000000000059d8 <label_06FF>:
	v_mov_b32_e32 v60, v230                                    // 0000000059D8: 7E7803E6
	v_mov_b32_e32 v72, v230                                    // 0000000059DC: 7E9003E6
	v_mov_b32_e32 v61, v230                                    // 0000000059E0: 7E7A03E6
	v_mov_b32_e32 v73, v230                                    // 0000000059E4: 7E9203E6
	v_mov_b32_e32 v62, v230                                    // 0000000059E8: 7E7C03E6
	v_mov_b32_e32 v74, v230                                    // 0000000059EC: 7E9403E6
	v_mov_b32_e32 v63, v230                                    // 0000000059F0: 7E7E03E6
	v_mov_b32_e32 v75, v230                                    // 0000000059F4: 7E9603E6
	s_branch label_0708                                        // 0000000059F8: BF820000

00000000000059fc <label_0708>:
	s_waitcnt lgkmcnt(8)                                       // 0000000059FC: BF8CC87F
	s_barrier                                                  // 000000005A00: BF8A0000
	v_mfma_f32_16x16x16_bf16 v[76:79], v[108:109], a[72:73], 0 // 000000005A04: D3E1004C 1202916C
	ds_read_b128 a[96:99], v14 offset:4352                     // 000000005A0C: DBFE1100 6000000E
	ds_read_b128 a[100:103], v14 offset:4864                   // 000000005A14: DBFE1300 6400000E
	v_mfma_f32_16x16x16_bf16 v[76:79], v[110:111], a[74:75], v[76:79]// 000000005A1C: D3E1004C 1532956E
	v_fma_f32 v52, v52, s57, -v140                             // 000000005A24: D1CB0034 86307334
	v_fma_f32 v53, v53, s57, -v141                             // 000000005A2C: D1CB0035 86347335
	v_fma_f32 v54, v54, s57, -v142                             // 000000005A34: D1CB0036 86387336
	v_fma_f32 v55, v55, s57, -v143                             // 000000005A3C: D1CB0037 863C7337
	v_fma_f32 v56, v56, s57, -v140                             // 000000005A44: D1CB0038 86307338
	v_fma_f32 v57, v57, s57, -v141                             // 000000005A4C: D1CB0039 86347339
	v_mfma_f32_16x16x16_bf16 v[76:79], v[112:113], a[76:77], v[76:79]// 000000005A54: D3E1004C 15329970
	v_fma_f32 v58, v58, s57, -v142                             // 000000005A5C: D1CB003A 8638733A
	v_fma_f32 v59, v59, s57, -v143                             // 000000005A64: D1CB003B 863C733B
	v_fma_f32 v60, v60, s57, -v140                             // 000000005A6C: D1CB003C 8630733C
	v_fma_f32 v61, v61, s57, -v141                             // 000000005A74: D1CB003D 8634733D
	v_fma_f32 v62, v62, s57, -v142                             // 000000005A7C: D1CB003E 8638733E
	v_fma_f32 v63, v63, s57, -v143                             // 000000005A84: D1CB003F 863C733F
	v_mfma_f32_16x16x16_bf16 v[76:79], v[114:115], a[78:79], v[76:79]// 000000005A8C: D3E1004C 15329D72
	v_fma_f32 v64, v64, s57, -v144                             // 000000005A94: D1CB0040 86407340
	v_fma_f32 v65, v65, s57, -v145                             // 000000005A9C: D1CB0041 86447341
	v_fma_f32 v66, v66, s57, -v146                             // 000000005AA4: D1CB0042 86487342
	v_fma_f32 v67, v67, s57, -v147                             // 000000005AAC: D1CB0043 864C7343
	v_fma_f32 v68, v68, s57, -v144                             // 000000005AB4: D1CB0044 86407344
	v_fma_f32 v69, v69, s57, -v145                             // 000000005ABC: D1CB0045 86447345
	v_mfma_f32_16x16x16_bf16 v[80:83], v[108:109], a[80:81], 0 // 000000005AC4: D3E10050 1202A16C
	ds_read_b128 a[104:107], v14 offset:6528                   // 000000005ACC: DBFE1980 6800000E
	ds_read_b128 a[108:111], v14 offset:7040                   // 000000005AD4: DBFE1B80 6C00000E
	v_mfma_f32_16x16x16_bf16 v[80:83], v[110:111], a[82:83], v[80:83]// 000000005ADC: D3E10050 1542A56E
	v_fma_f32 v70, v70, s57, -v146                             // 000000005AE4: D1CB0046 86487346
	v_fma_f32 v71, v71, s57, -v147                             // 000000005AEC: D1CB0047 864C7347
	v_fma_f32 v72, v72, s57, -v144                             // 000000005AF4: D1CB0048 86407348
	v_fma_f32 v73, v73, s57, -v145                             // 000000005AFC: D1CB0049 86447349
	v_fma_f32 v74, v74, s57, -v146                             // 000000005B04: D1CB004A 8648734A
	v_fma_f32 v75, v75, s57, -v147                             // 000000005B0C: D1CB004B 864C734B
	v_mfma_f32_16x16x16_bf16 v[80:83], v[112:113], a[84:85], v[80:83]// 000000005B14: D3E10050 1542A970
	v_exp_f32_e32 v52, v52                                     // 000000005B1C: 7E684134
	v_exp_f32_e32 v53, v53                                     // 000000005B20: 7E6A4135
	v_mfma_f32_16x16x16_bf16 v[80:83], v[114:115], a[86:87], v[80:83]// 000000005B24: D3E10050 1542AD72
	v_exp_f32_e32 v54, v54                                     // 000000005B2C: 7E6C4136
	v_exp_f32_e32 v55, v55                                     // 000000005B30: 7E6E4137
	v_mfma_f32_16x16x16_bf16 v[84:87], v[108:109], a[88:89], 0 // 000000005B34: D3E10054 1202B16C
	ds_read_b64 v[156:157], v21 offset:31232                   // 000000005B3C: D8EC7A00 9C000015
	ds_read_b64 v[158:159], v21 offset:33280                   // 000000005B44: D8EC8200 9E000015
	v_mfma_f32_16x16x16_bf16 v[84:87], v[110:111], a[90:91], v[84:87]// 000000005B4C: D3E10054 1552B56E
	v_exp_f32_e32 v56, v56                                     // 000000005B54: 7E704138
	v_exp_f32_e32 v57, v57                                     // 000000005B58: 7E724139
	v_mfma_f32_16x16x16_bf16 v[84:87], v[112:113], a[92:93], v[84:87]// 000000005B5C: D3E10054 1552B970
	ds_read_b64 v[160:161], v21 offset:35328                   // 000000005B64: D8EC8A00 A0000015
	ds_read_b64 v[162:163], v21 offset:37376                   // 000000005B6C: D8EC9200 A2000015
	v_mfma_f32_16x16x16_bf16 v[84:87], v[114:115], a[94:95], v[84:87]// 000000005B74: D3E10054 1552BD72
	v_exp_f32_e32 v58, v58                                     // 000000005B7C: 7E74413A
	v_exp_f32_e32 v59, v59                                     // 000000005B80: 7E76413B
	v_mfma_f32_16x16x16_bf16 v[88:91], v[116:117], a[72:73], 0 // 000000005B84: D3E10058 12029174
	v_exp_f32_e32 v60, v60                                     // 000000005B8C: 7E78413C
	v_exp_f32_e32 v61, v61                                     // 000000005B90: 7E7A413D
	v_mfma_f32_16x16x16_bf16 v[88:91], v[118:119], a[74:75], v[88:91]// 000000005B94: D3E10058 15629576
	v_exp_f32_e32 v62, v62                                     // 000000005B9C: 7E7C413E
	v_exp_f32_e32 v63, v63                                     // 000000005BA0: 7E7E413F
	v_mfma_f32_16x16x16_bf16 v[88:91], v[120:121], a[76:77], v[88:91]// 000000005BA4: D3E10058 15629978
	v_exp_f32_e32 v64, v64                                     // 000000005BAC: 7E804140
	v_exp_f32_e32 v65, v65                                     // 000000005BB0: 7E824141
	v_mfma_f32_16x16x16_bf16 v[88:91], v[122:123], a[78:79], v[88:91]// 000000005BB4: D3E10058 15629D7A
	v_exp_f32_e32 v66, v66                                     // 000000005BBC: 7E844142
	v_exp_f32_e32 v67, v67                                     // 000000005BC0: 7E864143
	v_mfma_f32_16x16x16_bf16 v[92:95], v[116:117], a[80:81], 0 // 000000005BC4: D3E1005C 1202A174
	v_exp_f32_e32 v68, v68                                     // 000000005BCC: 7E884144
	v_exp_f32_e32 v69, v69                                     // 000000005BD0: 7E8A4145
	v_mfma_f32_16x16x16_bf16 v[92:95], v[118:119], a[82:83], v[92:95]// 000000005BD4: D3E1005C 1572A576
	v_exp_f32_e32 v70, v70                                     // 000000005BDC: 7E8C4146
	v_exp_f32_e32 v71, v71                                     // 000000005BE0: 7E8E4147
	v_mfma_f32_16x16x16_bf16 v[92:95], v[120:121], a[84:85], v[92:95]// 000000005BE4: D3E1005C 1572A978
	v_exp_f32_e32 v72, v72                                     // 000000005BEC: 7E904148
	v_exp_f32_e32 v73, v73                                     // 000000005BF0: 7E924149
	v_mfma_f32_16x16x16_bf16 v[92:95], v[122:123], a[86:87], v[92:95]// 000000005BF4: D3E1005C 1572AD7A
	v_exp_f32_e32 v74, v74                                     // 000000005BFC: 7E94414A
	v_exp_f32_e32 v75, v75                                     // 000000005C00: 7E96414B
	v_mfma_f32_16x16x16_bf16 v[96:99], v[116:117], a[88:89], 0 // 000000005C04: D3E10060 1202B174
	v_cmp_u_f32_e64 s[74:75], v52, v52                         // 000000005C0C: D048004A 00026934
	v_add3_u32 v226, v52, v229, 1                              // 000000005C14: D1FF00E2 0207CB34
	v_cndmask_b32_e64 v32, v226, v228, s[74:75]                // 000000005C1C: D1000020 012BC9E2
	v_cmp_u_f32_e64 s[74:75], v53, v53                         // 000000005C24: D048004A 00026B35
	v_add3_u32 v226, v53, v229, 1                              // 000000005C2C: D1FF00E2 0207CB35
	v_cndmask_b32_e64 v33, v226, v228, s[74:75]                // 000000005C34: D1000021 012BC9E2
	v_perm_b32 v164, v33, v32, s64                             // 000000005C3C: D1ED00A4 01024121
	v_cmp_u_f32_e64 s[74:75], v54, v54                         // 000000005C44: D048004A 00026D36
	v_add3_u32 v226, v54, v229, 1                              // 000000005C4C: D1FF00E2 0207CB36
	v_cndmask_b32_e64 v32, v226, v228, s[74:75]                // 000000005C54: D1000020 012BC9E2
	v_cmp_u_f32_e64 s[74:75], v55, v55                         // 000000005C5C: D048004A 00026F37
	v_add3_u32 v226, v55, v229, 1                              // 000000005C64: D1FF00E2 0207CB37
	v_cndmask_b32_e64 v33, v226, v228, s[74:75]                // 000000005C6C: D1000021 012BC9E2
	v_perm_b32 v165, v33, v32, s64                             // 000000005C74: D1ED00A5 01024121
	v_cmp_u_f32_e64 s[74:75], v56, v56                         // 000000005C7C: D048004A 00027138
	v_add3_u32 v226, v56, v229, 1                              // 000000005C84: D1FF00E2 0207CB38
	v_cndmask_b32_e64 v32, v226, v228, s[74:75]                // 000000005C8C: D1000020 012BC9E2
	v_cmp_u_f32_e64 s[74:75], v57, v57                         // 000000005C94: D048004A 00027339
	v_add3_u32 v226, v57, v229, 1                              // 000000005C9C: D1FF00E2 0207CB39
	v_cndmask_b32_e64 v33, v226, v228, s[74:75]                // 000000005CA4: D1000021 012BC9E2
	v_perm_b32 v166, v33, v32, s64                             // 000000005CAC: D1ED00A6 01024121
	v_cmp_u_f32_e64 s[74:75], v58, v58                         // 000000005CB4: D048004A 0002753A
	v_add3_u32 v226, v58, v229, 1                              // 000000005CBC: D1FF00E2 0207CB3A
	v_cndmask_b32_e64 v32, v226, v228, s[74:75]                // 000000005CC4: D1000020 012BC9E2
	v_cmp_u_f32_e64 s[74:75], v59, v59                         // 000000005CCC: D048004A 0002773B
	v_add3_u32 v226, v59, v229, 1                              // 000000005CD4: D1FF00E2 0207CB3B
	v_cndmask_b32_e64 v33, v226, v228, s[74:75]                // 000000005CDC: D1000021 012BC9E2
	v_perm_b32 v167, v33, v32, s64                             // 000000005CE4: D1ED00A7 01024121
	v_cmp_u_f32_e64 s[74:75], v60, v60                         // 000000005CEC: D048004A 0002793C
	v_add3_u32 v226, v60, v229, 1                              // 000000005CF4: D1FF00E2 0207CB3C
	v_cndmask_b32_e64 v32, v226, v228, s[74:75]                // 000000005CFC: D1000020 012BC9E2
	v_cmp_u_f32_e64 s[74:75], v61, v61                         // 000000005D04: D048004A 00027B3D
	v_add3_u32 v226, v61, v229, 1                              // 000000005D0C: D1FF00E2 0207CB3D
	v_cndmask_b32_e64 v33, v226, v228, s[74:75]                // 000000005D14: D1000021 012BC9E2
	v_perm_b32 v168, v33, v32, s64                             // 000000005D1C: D1ED00A8 01024121
	v_cmp_u_f32_e64 s[74:75], v62, v62                         // 000000005D24: D048004A 00027D3E
	v_add3_u32 v226, v62, v229, 1                              // 000000005D2C: D1FF00E2 0207CB3E
	v_cndmask_b32_e64 v32, v226, v228, s[74:75]                // 000000005D34: D1000020 012BC9E2
	v_cmp_u_f32_e64 s[74:75], v63, v63                         // 000000005D3C: D048004A 00027F3F
	v_add3_u32 v226, v63, v229, 1                              // 000000005D44: D1FF00E2 0207CB3F
	v_cndmask_b32_e64 v33, v226, v228, s[74:75]                // 000000005D4C: D1000021 012BC9E2
	v_perm_b32 v169, v33, v32, s64                             // 000000005D54: D1ED00A9 01024121
	v_mfma_f32_16x16x16_bf16 v[96:99], v[118:119], a[90:91], v[96:99]// 000000005D5C: D3E10060 1582B576
	v_cmp_u_f32_e64 s[74:75], v64, v64                         // 000000005D64: D048004A 00028140
	v_add3_u32 v226, v64, v229, 1                              // 000000005D6C: D1FF00E2 0207CB40
	v_cndmask_b32_e64 v32, v226, v228, s[74:75]                // 000000005D74: D1000020 012BC9E2
	v_cmp_u_f32_e64 s[74:75], v65, v65                         // 000000005D7C: D048004A 00028341
	v_add3_u32 v226, v65, v229, 1                              // 000000005D84: D1FF00E2 0207CB41
	v_cndmask_b32_e64 v33, v226, v228, s[74:75]                // 000000005D8C: D1000021 012BC9E2
	v_perm_b32 v170, v33, v32, s64                             // 000000005D94: D1ED00AA 01024121
	v_cmp_u_f32_e64 s[74:75], v66, v66                         // 000000005D9C: D048004A 00028542
	v_add3_u32 v226, v66, v229, 1                              // 000000005DA4: D1FF00E2 0207CB42
	v_cndmask_b32_e64 v32, v226, v228, s[74:75]                // 000000005DAC: D1000020 012BC9E2
	v_cmp_u_f32_e64 s[74:75], v67, v67                         // 000000005DB4: D048004A 00028743
	v_add3_u32 v226, v67, v229, 1                              // 000000005DBC: D1FF00E2 0207CB43
	v_cndmask_b32_e64 v33, v226, v228, s[74:75]                // 000000005DC4: D1000021 012BC9E2
	v_perm_b32 v171, v33, v32, s64                             // 000000005DCC: D1ED00AB 01024121
	v_cmp_u_f32_e64 s[74:75], v68, v68                         // 000000005DD4: D048004A 00028944
	v_add3_u32 v226, v68, v229, 1                              // 000000005DDC: D1FF00E2 0207CB44
	v_cndmask_b32_e64 v32, v226, v228, s[74:75]                // 000000005DE4: D1000020 012BC9E2
	v_cmp_u_f32_e64 s[74:75], v69, v69                         // 000000005DEC: D048004A 00028B45
	v_add3_u32 v226, v69, v229, 1                              // 000000005DF4: D1FF00E2 0207CB45
	v_cndmask_b32_e64 v33, v226, v228, s[74:75]                // 000000005DFC: D1000021 012BC9E2
	v_perm_b32 v172, v33, v32, s64                             // 000000005E04: D1ED00AC 01024121
	v_cmp_u_f32_e64 s[74:75], v70, v70                         // 000000005E0C: D048004A 00028D46
	v_add3_u32 v226, v70, v229, 1                              // 000000005E14: D1FF00E2 0207CB46
	v_cndmask_b32_e64 v32, v226, v228, s[74:75]                // 000000005E1C: D1000020 012BC9E2
	v_cmp_u_f32_e64 s[74:75], v71, v71                         // 000000005E24: D048004A 00028F47
	v_add3_u32 v226, v71, v229, 1                              // 000000005E2C: D1FF00E2 0207CB47
	v_cndmask_b32_e64 v33, v226, v228, s[74:75]                // 000000005E34: D1000021 012BC9E2
	v_perm_b32 v173, v33, v32, s64                             // 000000005E3C: D1ED00AD 01024121
	v_cmp_u_f32_e64 s[74:75], v72, v72                         // 000000005E44: D048004A 00029148
	v_add3_u32 v226, v72, v229, 1                              // 000000005E4C: D1FF00E2 0207CB48
	v_cndmask_b32_e64 v32, v226, v228, s[74:75]                // 000000005E54: D1000020 012BC9E2
	v_cmp_u_f32_e64 s[74:75], v73, v73                         // 000000005E5C: D048004A 00029349
	v_add3_u32 v226, v73, v229, 1                              // 000000005E64: D1FF00E2 0207CB49
	v_cndmask_b32_e64 v33, v226, v228, s[74:75]                // 000000005E6C: D1000021 012BC9E2
	v_perm_b32 v174, v33, v32, s64                             // 000000005E74: D1ED00AE 01024121
	v_cmp_u_f32_e64 s[74:75], v74, v74                         // 000000005E7C: D048004A 0002954A
	v_add3_u32 v226, v74, v229, 1                              // 000000005E84: D1FF00E2 0207CB4A
	v_cndmask_b32_e64 v32, v226, v228, s[74:75]                // 000000005E8C: D1000020 012BC9E2
	v_cmp_u_f32_e64 s[74:75], v75, v75                         // 000000005E94: D048004A 0002974B
	v_add3_u32 v226, v75, v229, 1                              // 000000005E9C: D1FF00E2 0207CB4B
	v_cndmask_b32_e64 v33, v226, v228, s[74:75]                // 000000005EA4: D1000021 012BC9E2
	v_perm_b32 v175, v33, v32, s64                             // 000000005EAC: D1ED00AF 01024121
	v_mfma_f32_16x16x16_bf16 v[96:99], v[120:121], a[92:93], v[96:99]// 000000005EB4: D3E10060 1582B978
	v_add_u32_e32 v6, s66, v6                                  // 000000005EBC: 680C0C42
	v_add_u32_e32 v7, s66, v7                                  // 000000005EC0: 680E0E42
	v_add_u32_e32 v8, s66, v8                                  // 000000005EC4: 68101042
	v_add_u32_e32 v9, s66, v9                                  // 000000005EC8: 68121242
	v_mfma_f32_16x16x16_bf16 v[96:99], v[122:123], a[94:95], v[96:99]// 000000005ECC: D3E10060 1582BD7A
	s_waitcnt lgkmcnt(0)                                       // 000000005ED4: BF8CC07F
	s_barrier                                                  // 000000005ED8: BF8A0000
	v_mfma_f32_16x16x16_bf16 v[178:181], v[124:125], v[164:165], v[178:181]// 000000005EDC: D3E100B2 06CB497C
	v_subrev_f32_dpp v76, v176, v76 quad_perm:[0,0,0,0] row_mask:0xf bank_mask:0xf// 000000005EE4: 069898FA FF0000B0
	v_subrev_f32_dpp v77, v176, v77 quad_perm:[1,1,1,1] row_mask:0xf bank_mask:0xf// 000000005EEC: 069A9AFA FF0055B0
	v_subrev_f32_dpp v78, v176, v78 quad_perm:[2,2,2,2] row_mask:0xf bank_mask:0xf// 000000005EF4: 069C9CFA FF00AAB0
	v_subrev_f32_dpp v79, v176, v79 quad_perm:[3,3,3,3] row_mask:0xf bank_mask:0xf// 000000005EFC: 069E9EFA FF00FFB0
	v_subrev_f32_dpp v80, v176, v80 quad_perm:[0,0,0,0] row_mask:0xf bank_mask:0xf// 000000005F04: 06A0A0FA FF0000B0
	v_subrev_f32_dpp v81, v176, v81 quad_perm:[1,1,1,1] row_mask:0xf bank_mask:0xf// 000000005F0C: 06A2A2FA FF0055B0
	v_mfma_f32_16x16x16_bf16 v[182:185], v[126:127], v[164:165], v[182:185]// 000000005F14: D3E100B6 06DB497E
	v_subrev_f32_dpp v82, v176, v82 quad_perm:[2,2,2,2] row_mask:0xf bank_mask:0xf// 000000005F1C: 06A4A4FA FF00AAB0
	v_subrev_f32_dpp v83, v176, v83 quad_perm:[3,3,3,3] row_mask:0xf bank_mask:0xf// 000000005F24: 06A6A6FA FF00FFB0
	v_subrev_f32_dpp v84, v176, v84 quad_perm:[0,0,0,0] row_mask:0xf bank_mask:0xf// 000000005F2C: 06A8A8FA FF0000B0
	v_subrev_f32_dpp v85, v176, v85 quad_perm:[1,1,1,1] row_mask:0xf bank_mask:0xf// 000000005F34: 06AAAAFA FF0055B0
	v_subrev_f32_dpp v86, v176, v86 quad_perm:[2,2,2,2] row_mask:0xf bank_mask:0xf// 000000005F3C: 06ACACFA FF00AAB0
	v_subrev_f32_dpp v87, v176, v87 quad_perm:[3,3,3,3] row_mask:0xf bank_mask:0xf// 000000005F44: 06AEAEFA FF00FFB0
	v_mfma_f32_16x16x16_bf16 v[186:189], v[128:129], v[164:165], v[186:189]// 000000005F4C: D3E100BA 06EB4980
	v_mul_f32_e32 v76, v52, v76                                // 000000005F54: 0A989934
	v_mul_f32_e32 v77, v53, v77                                // 000000005F58: 0A9A9B35
	v_mul_f32_e32 v78, v54, v78                                // 000000005F5C: 0A9C9D36
	v_mul_f32_e32 v79, v55, v79                                // 000000005F60: 0A9E9F37
	v_mul_f32_e32 v80, v56, v80                                // 000000005F64: 0AA0A138
	v_mul_f32_e32 v81, v57, v81                                // 000000005F68: 0AA2A339
	v_mfma_f32_16x16x16_bf16 v[190:193], v[130:131], v[164:165], v[190:193]// 000000005F6C: D3E100BE 06FB4982
	v_mul_f32_e32 v82, v58, v82                                // 000000005F74: 0AA4A53A
	v_mul_f32_e32 v83, v59, v83                                // 000000005F78: 0AA6A73B
	v_mul_f32_e32 v84, v60, v84                                // 000000005F7C: 0AA8A93C
	v_mul_f32_e32 v85, v61, v85                                // 000000005F80: 0AAAAB3D
	v_mul_f32_e32 v86, v62, v86                                // 000000005F84: 0AACAD3E
	v_mul_f32_e32 v87, v63, v87                                // 000000005F88: 0AAEAF3F
	v_mfma_f32_16x16x16_bf16 v[194:197], v[124:125], v[166:167], v[194:197]// 000000005F8C: D3E100C2 070B4D7C
	v_cmp_u_f32_e64 s[74:75], v76, v76                         // 000000005F94: D048004A 0002994C
	v_add3_u32 v226, v76, v229, 1                              // 000000005F9C: D1FF00E2 0207CB4C
	v_cndmask_b32_e64 v32, v226, v228, s[74:75]                // 000000005FA4: D1000020 012BC9E2
	v_cmp_u_f32_e64 s[74:75], v77, v77                         // 000000005FAC: D048004A 00029B4D
	v_add3_u32 v226, v77, v229, 1                              // 000000005FB4: D1FF00E2 0207CB4D
	v_cndmask_b32_e64 v33, v226, v228, s[74:75]                // 000000005FBC: D1000021 012BC9E2
	v_perm_b32 v76, v33, v32, s64                              // 000000005FC4: D1ED004C 01024121
	v_cmp_u_f32_e64 s[74:75], v78, v78                         // 000000005FCC: D048004A 00029D4E
	v_add3_u32 v226, v78, v229, 1                              // 000000005FD4: D1FF00E2 0207CB4E
	v_cndmask_b32_e64 v32, v226, v228, s[74:75]                // 000000005FDC: D1000020 012BC9E2
	v_cmp_u_f32_e64 s[74:75], v79, v79                         // 000000005FE4: D048004A 00029F4F
	v_add3_u32 v226, v79, v229, 1                              // 000000005FEC: D1FF00E2 0207CB4F
	v_cndmask_b32_e64 v33, v226, v228, s[74:75]                // 000000005FF4: D1000021 012BC9E2
	v_perm_b32 v77, v33, v32, s64                              // 000000005FFC: D1ED004D 01024121
	v_cmp_u_f32_e64 s[74:75], v80, v80                         // 000000006004: D048004A 0002A150
	v_add3_u32 v226, v80, v229, 1                              // 00000000600C: D1FF00E2 0207CB50
	v_cndmask_b32_e64 v32, v226, v228, s[74:75]                // 000000006014: D1000020 012BC9E2
	v_cmp_u_f32_e64 s[74:75], v81, v81                         // 00000000601C: D048004A 0002A351
	v_add3_u32 v226, v81, v229, 1                              // 000000006024: D1FF00E2 0207CB51
	v_cndmask_b32_e64 v33, v226, v228, s[74:75]                // 00000000602C: D1000021 012BC9E2
	v_perm_b32 v78, v33, v32, s64                              // 000000006034: D1ED004E 01024121
	v_cmp_u_f32_e64 s[74:75], v82, v82                         // 00000000603C: D048004A 0002A552
	v_add3_u32 v226, v82, v229, 1                              // 000000006044: D1FF00E2 0207CB52
	v_cndmask_b32_e64 v32, v226, v228, s[74:75]                // 00000000604C: D1000020 012BC9E2
	v_cmp_u_f32_e64 s[74:75], v83, v83                         // 000000006054: D048004A 0002A753
	v_add3_u32 v226, v83, v229, 1                              // 00000000605C: D1FF00E2 0207CB53
	v_cndmask_b32_e64 v33, v226, v228, s[74:75]                // 000000006064: D1000021 012BC9E2
	v_perm_b32 v79, v33, v32, s64                              // 00000000606C: D1ED004F 01024121
	v_cmp_u_f32_e64 s[74:75], v84, v84                         // 000000006074: D048004A 0002A954
	v_add3_u32 v226, v84, v229, 1                              // 00000000607C: D1FF00E2 0207CB54
	v_cndmask_b32_e64 v32, v226, v228, s[74:75]                // 000000006084: D1000020 012BC9E2
	v_cmp_u_f32_e64 s[74:75], v85, v85                         // 00000000608C: D048004A 0002AB55
	v_add3_u32 v226, v85, v229, 1                              // 000000006094: D1FF00E2 0207CB55
	v_cndmask_b32_e64 v33, v226, v228, s[74:75]                // 00000000609C: D1000021 012BC9E2
	v_perm_b32 v80, v33, v32, s64                              // 0000000060A4: D1ED0050 01024121
	v_cmp_u_f32_e64 s[74:75], v86, v86                         // 0000000060AC: D048004A 0002AD56
	v_add3_u32 v226, v86, v229, 1                              // 0000000060B4: D1FF00E2 0207CB56
	v_cndmask_b32_e64 v32, v226, v228, s[74:75]                // 0000000060BC: D1000020 012BC9E2
	v_cmp_u_f32_e64 s[74:75], v87, v87                         // 0000000060C4: D048004A 0002AF57
	v_add3_u32 v226, v87, v229, 1                              // 0000000060CC: D1FF00E2 0207CB57
	v_cndmask_b32_e64 v33, v226, v228, s[74:75]                // 0000000060D4: D1000021 012BC9E2
	v_perm_b32 v81, v33, v32, s64                              // 0000000060DC: D1ED0051 01024121
	v_mfma_f32_16x16x16_bf16 v[198:201], v[126:127], v[166:167], v[198:201]// 0000000060E4: D3E100C6 071B4D7E
	v_mov_b32_dpp v18, v76 quad_perm:[1,0,3,2] row_mask:0xf bank_mask:0xf// 0000000060EC: 7E2402FA FF00B14C
	v_perm_b32 v52, v18, v76, v17                              // 0000000060F4: D1ED0034 04469912
	v_mov_b32_dpp v18, v77 quad_perm:[1,0,3,2] row_mask:0xf bank_mask:0xf// 0000000060FC: 7E2402FA FF00B14D
	v_perm_b32 v53, v18, v77, v17                              // 000000006104: D1ED0035 04469B12
	v_mov_b32_dpp v18, v78 quad_perm:[1,0,3,2] row_mask:0xf bank_mask:0xf// 00000000610C: 7E2402FA FF00B14E
	v_perm_b32 v54, v18, v78, v17                              // 000000006114: D1ED0036 04469D12
	v_mfma_f32_16x16x16_bf16 v[202:205], v[128:129], v[166:167], v[202:205]// 00000000611C: D3E100CA 072B4D80
	v_mov_b32_dpp v18, v79 quad_perm:[1,0,3,2] row_mask:0xf bank_mask:0xf// 000000006124: 7E2402FA FF00B14F
	v_perm_b32 v55, v18, v79, v17                              // 00000000612C: D1ED0037 04469F12
	v_mov_b32_dpp v18, v80 quad_perm:[1,0,3,2] row_mask:0xf bank_mask:0xf// 000000006134: 7E2402FA FF00B150
	v_perm_b32 v56, v18, v80, v17                              // 00000000613C: D1ED0038 0446A112
	v_mov_b32_dpp v18, v81 quad_perm:[1,0,3,2] row_mask:0xf bank_mask:0xf// 000000006144: 7E2402FA FF00B151
	v_perm_b32 v57, v18, v81, v17                              // 00000000614C: D1ED0039 0446A312
	v_mfma_f32_16x16x16_bf16 v[206:209], v[130:131], v[166:167], v[206:209]// 000000006154: D3E100CE 073B4D82
	ds_write_b32 v20, v52 offset:17408                         // 00000000615C: D81A4400 00003414
	ds_write_b32 v20, v53 offset:17952                         // 000000006164: D81A4620 00003514
	v_mfma_f32_16x16x16_bf16 v[210:213], v[124:125], v[168:169], v[210:213]// 00000000616C: D3E100D2 074B517C
	v_subrev_f32_dpp v88, v177, v88 quad_perm:[0,0,0,0] row_mask:0xf bank_mask:0xf// 000000006174: 06B0B0FA FF0000B1
	v_subrev_f32_dpp v89, v177, v89 quad_perm:[1,1,1,1] row_mask:0xf bank_mask:0xf// 00000000617C: 06B2B2FA FF0055B1
	v_subrev_f32_dpp v90, v177, v90 quad_perm:[2,2,2,2] row_mask:0xf bank_mask:0xf// 000000006184: 06B4B4FA FF00AAB1
	v_subrev_f32_dpp v91, v177, v91 quad_perm:[3,3,3,3] row_mask:0xf bank_mask:0xf// 00000000618C: 06B6B6FA FF00FFB1
	v_subrev_f32_dpp v92, v177, v92 quad_perm:[0,0,0,0] row_mask:0xf bank_mask:0xf// 000000006194: 06B8B8FA FF0000B1
	v_subrev_f32_dpp v93, v177, v93 quad_perm:[1,1,1,1] row_mask:0xf bank_mask:0xf// 00000000619C: 06BABAFA FF0055B1
	v_mfma_f32_16x16x16_bf16 v[214:217], v[126:127], v[168:169], v[214:217]// 0000000061A4: D3E100D6 075B517E
	ds_write_b32 v20, v54 offset:19712                         // 0000000061AC: D81A4D00 00003614
	ds_write_b32 v20, v55 offset:20256                         // 0000000061B4: D81A4F20 00003714
	v_mfma_f32_16x16x16_bf16 v[218:221], v[128:129], v[168:169], v[218:221]// 0000000061BC: D3E100DA 076B5180
	v_subrev_f32_dpp v94, v177, v94 quad_perm:[2,2,2,2] row_mask:0xf bank_mask:0xf// 0000000061C4: 06BCBCFA FF00AAB1
	v_subrev_f32_dpp v95, v177, v95 quad_perm:[3,3,3,3] row_mask:0xf bank_mask:0xf// 0000000061CC: 06BEBEFA FF00FFB1
	v_subrev_f32_dpp v96, v177, v96 quad_perm:[0,0,0,0] row_mask:0xf bank_mask:0xf// 0000000061D4: 06C0C0FA FF0000B1
	v_subrev_f32_dpp v97, v177, v97 quad_perm:[1,1,1,1] row_mask:0xf bank_mask:0xf// 0000000061DC: 06C2C2FA FF0055B1
	v_subrev_f32_dpp v98, v177, v98 quad_perm:[2,2,2,2] row_mask:0xf bank_mask:0xf// 0000000061E4: 06C4C4FA FF00AAB1
	v_subrev_f32_dpp v99, v177, v99 quad_perm:[3,3,3,3] row_mask:0xf bank_mask:0xf// 0000000061EC: 06C6C6FA FF00FFB1
	v_mfma_f32_16x16x16_bf16 v[222:225], v[130:131], v[168:169], v[222:225]// 0000000061F4: D3E100DE 077B5182
	ds_write_b32 v20, v56 offset:22016                         // 0000000061FC: D81A5600 00003814
	ds_write_b32 v20, v57 offset:22560                         // 000000006204: D81A5820 00003914
	v_mfma_f32_16x16x16_bf16 v[178:181], v[132:133], v[170:171], v[178:181]// 00000000620C: D3E100B2 06CB5584
	v_mul_f32_e32 v88, v64, v88                                // 000000006214: 0AB0B140
	v_mul_f32_e32 v89, v65, v89                                // 000000006218: 0AB2B341
	v_mul_f32_e32 v90, v66, v90                                // 00000000621C: 0AB4B542
	v_mul_f32_e32 v91, v67, v91                                // 000000006220: 0AB6B743
	v_mul_f32_e32 v92, v68, v92                                // 000000006224: 0AB8B944
	v_mul_f32_e32 v93, v69, v93                                // 000000006228: 0ABABB45
	v_mfma_f32_16x16x16_bf16 v[182:185], v[134:135], v[170:171], v[182:185]// 00000000622C: D3E100B6 06DB5586
	v_mul_f32_e32 v94, v70, v94                                // 000000006234: 0ABCBD46
	v_mul_f32_e32 v95, v71, v95                                // 000000006238: 0ABEBF47
	v_mul_f32_e32 v96, v72, v96                                // 00000000623C: 0AC0C148
	v_mul_f32_e32 v97, v73, v97                                // 000000006240: 0AC2C349
	v_mul_f32_e32 v98, v74, v98                                // 000000006244: 0AC4C54A
	v_mul_f32_e32 v99, v75, v99                                // 000000006248: 0AC6C74B
	v_mfma_f32_16x16x16_bf16 v[186:189], v[136:137], v[170:171], v[186:189]// 00000000624C: D3E100BA 06EB5588
	v_cmp_u_f32_e64 s[74:75], v88, v88                         // 000000006254: D048004A 0002B158
	v_add3_u32 v226, v88, v229, 1                              // 00000000625C: D1FF00E2 0207CB58
	v_cndmask_b32_e64 v32, v226, v228, s[74:75]                // 000000006264: D1000020 012BC9E2
	v_cmp_u_f32_e64 s[74:75], v89, v89                         // 00000000626C: D048004A 0002B359
	v_add3_u32 v226, v89, v229, 1                              // 000000006274: D1FF00E2 0207CB59
	v_cndmask_b32_e64 v33, v226, v228, s[74:75]                // 00000000627C: D1000021 012BC9E2
	v_perm_b32 v82, v33, v32, s64                              // 000000006284: D1ED0052 01024121
	v_cmp_u_f32_e64 s[74:75], v90, v90                         // 00000000628C: D048004A 0002B55A
	v_add3_u32 v226, v90, v229, 1                              // 000000006294: D1FF00E2 0207CB5A
	v_cndmask_b32_e64 v32, v226, v228, s[74:75]                // 00000000629C: D1000020 012BC9E2
	v_cmp_u_f32_e64 s[74:75], v91, v91                         // 0000000062A4: D048004A 0002B75B
	v_add3_u32 v226, v91, v229, 1                              // 0000000062AC: D1FF00E2 0207CB5B
	v_cndmask_b32_e64 v33, v226, v228, s[74:75]                // 0000000062B4: D1000021 012BC9E2
	v_perm_b32 v83, v33, v32, s64                              // 0000000062BC: D1ED0053 01024121
	v_cmp_u_f32_e64 s[74:75], v92, v92                         // 0000000062C4: D048004A 0002B95C
	v_add3_u32 v226, v92, v229, 1                              // 0000000062CC: D1FF00E2 0207CB5C
	v_cndmask_b32_e64 v32, v226, v228, s[74:75]                // 0000000062D4: D1000020 012BC9E2
	v_cmp_u_f32_e64 s[74:75], v93, v93                         // 0000000062DC: D048004A 0002BB5D
	v_add3_u32 v226, v93, v229, 1                              // 0000000062E4: D1FF00E2 0207CB5D
	v_cndmask_b32_e64 v33, v226, v228, s[74:75]                // 0000000062EC: D1000021 012BC9E2
	v_perm_b32 v84, v33, v32, s64                              // 0000000062F4: D1ED0054 01024121
	v_cmp_u_f32_e64 s[74:75], v94, v94                         // 0000000062FC: D048004A 0002BD5E
	v_add3_u32 v226, v94, v229, 1                              // 000000006304: D1FF00E2 0207CB5E
	v_cndmask_b32_e64 v32, v226, v228, s[74:75]                // 00000000630C: D1000020 012BC9E2
	v_cmp_u_f32_e64 s[74:75], v95, v95                         // 000000006314: D048004A 0002BF5F
	v_add3_u32 v226, v95, v229, 1                              // 00000000631C: D1FF00E2 0207CB5F
	v_cndmask_b32_e64 v33, v226, v228, s[74:75]                // 000000006324: D1000021 012BC9E2
	v_perm_b32 v85, v33, v32, s64                              // 00000000632C: D1ED0055 01024121
	v_cmp_u_f32_e64 s[74:75], v96, v96                         // 000000006334: D048004A 0002C160
	v_add3_u32 v226, v96, v229, 1                              // 00000000633C: D1FF00E2 0207CB60
	v_cndmask_b32_e64 v32, v226, v228, s[74:75]                // 000000006344: D1000020 012BC9E2
	v_cmp_u_f32_e64 s[74:75], v97, v97                         // 00000000634C: D048004A 0002C361
	v_add3_u32 v226, v97, v229, 1                              // 000000006354: D1FF00E2 0207CB61
	v_cndmask_b32_e64 v33, v226, v228, s[74:75]                // 00000000635C: D1000021 012BC9E2
	v_perm_b32 v86, v33, v32, s64                              // 000000006364: D1ED0056 01024121
	v_cmp_u_f32_e64 s[74:75], v98, v98                         // 00000000636C: D048004A 0002C562
	v_add3_u32 v226, v98, v229, 1                              // 000000006374: D1FF00E2 0207CB62
	v_cndmask_b32_e64 v32, v226, v228, s[74:75]                // 00000000637C: D1000020 012BC9E2
	v_cmp_u_f32_e64 s[74:75], v99, v99                         // 000000006384: D048004A 0002C763
	v_add3_u32 v226, v99, v229, 1                              // 00000000638C: D1FF00E2 0207CB63
	v_cndmask_b32_e64 v33, v226, v228, s[74:75]                // 000000006394: D1000021 012BC9E2
	v_perm_b32 v87, v33, v32, s64                              // 00000000639C: D1ED0057 01024121
	v_mfma_f32_16x16x16_bf16 v[190:193], v[138:139], v[170:171], v[190:193]// 0000000063A4: D3E100BE 06FB558A
	v_mov_b32_dpp v18, v82 quad_perm:[1,0,3,2] row_mask:0xf bank_mask:0xf// 0000000063AC: 7E2402FA FF00B152
	v_perm_b32 v58, v18, v82, v17                              // 0000000063B4: D1ED003A 0446A512
	v_mov_b32_dpp v18, v83 quad_perm:[1,0,3,2] row_mask:0xf bank_mask:0xf// 0000000063BC: 7E2402FA FF00B153
	v_perm_b32 v59, v18, v83, v17                              // 0000000063C4: D1ED003B 0446A712
	v_mov_b32_dpp v18, v84 quad_perm:[1,0,3,2] row_mask:0xf bank_mask:0xf// 0000000063CC: 7E2402FA FF00B154
	v_perm_b32 v60, v18, v84, v17                              // 0000000063D4: D1ED003C 0446A912
	v_mfma_f32_16x16x16_bf16 v[194:197], v[132:133], v[172:173], v[194:197]// 0000000063DC: D3E100C2 070B5984
	v_mov_b32_dpp v18, v85 quad_perm:[1,0,3,2] row_mask:0xf bank_mask:0xf// 0000000063E4: 7E2402FA FF00B155
	v_perm_b32 v61, v18, v85, v17                              // 0000000063EC: D1ED003D 0446AB12
	v_mov_b32_dpp v18, v86 quad_perm:[1,0,3,2] row_mask:0xf bank_mask:0xf// 0000000063F4: 7E2402FA FF00B156
	v_perm_b32 v62, v18, v86, v17                              // 0000000063FC: D1ED003E 0446AD12
	v_mov_b32_dpp v18, v87 quad_perm:[1,0,3,2] row_mask:0xf bank_mask:0xf// 000000006404: 7E2402FA FF00B157
	v_perm_b32 v63, v18, v87, v17                              // 00000000640C: D1ED003F 0446AF12
	v_mfma_f32_16x16x16_bf16 v[198:201], v[134:135], v[172:173], v[198:201]// 000000006414: D3E100C6 071B5986
	ds_write_b32 v20, v58 offset:24320                         // 00000000641C: D81A5F00 00003A14
	ds_write_b32 v20, v59 offset:24864                         // 000000006424: D81A6120 00003B14
	v_mfma_f32_16x16x16_bf16 v[202:205], v[136:137], v[172:173], v[202:205]// 00000000642C: D3E100CA 072B5988
	v_mfma_f32_16x16x16_bf16 v[206:209], v[138:139], v[172:173], v[206:209]// 000000006434: D3E100CE 073B598A
	ds_write_b32 v20, v60 offset:26624                         // 00000000643C: D81A6800 00003C14
	ds_write_b32 v20, v61 offset:27168                         // 000000006444: D81A6A20 00003D14
	ds_write_b32 v20, v62 offset:28928                         // 00000000644C: D81A7100 00003E14
	ds_write_b32 v20, v63 offset:29472                         // 000000006454: D81A7320 00003F14
	v_mfma_f32_16x16x16_bf16 v[210:213], v[132:133], v[174:175], v[210:213]// 00000000645C: D3E100D2 074B5D84
	v_mfma_f32_16x16x16_bf16 v[214:217], v[134:135], v[174:175], v[214:217]// 000000006464: D3E100D6 075B5D86
	ds_write_b32 v15, v100 offset:4352                         // 00000000646C: D81A1100 0000640F
	ds_write_b32 v15, v101 offset:5408                         // 000000006474: D81A1520 0000650F
	v_mfma_f32_16x16x16_bf16 v[218:221], v[136:137], v[174:175], v[218:221]// 00000000647C: D3E100DA 076B5D88
	s_nop 0                                                    // 000000006484: BF800000
	s_nop 0                                                    // 000000006488: BF800000
	s_nop 0                                                    // 00000000648C: BF800000
	v_mfma_f32_16x16x16_bf16 v[222:225], v[138:139], v[174:175], v[222:225]// 000000006490: D3E100DE 077B5D8A
	ds_write_b32 v15, v102 offset:6528                         // 000000006498: D81A1980 0000660F
	ds_write_b32 v15, v103 offset:7584                         // 0000000064A0: D81A1DA0 0000670F
	s_barrier                                                  // 0000000064A8: BF8A0000
	v_mfma_f32_16x16x16_bf16 a[112:115], a[96:97], v[76:77], a[112:115]// 0000000064AC: D3E18070 0DC29960
	buffer_atomic_add_f32 v156, v6, s[32:35], 0 idxen          // 0000000064B4: E1342000 80089C06
	v_mfma_f32_16x16x16_bf16 a[116:119], a[98:99], v[76:77], a[116:119]// 0000000064BC: D3E18074 0DD29962
	ds_read_b32 v140, v23 offset:39936                         // 0000000064C4: D86C9C00 8C000017
	ds_read_b32 v144, v23 offset:40000                         // 0000000064CC: D86C9C40 90000017
	ds_read_b32 v176, v23 offset:40192                         // 0000000064D4: D86C9D00 B0000017
	ds_read_b32 v177, v23 offset:40256                         // 0000000064DC: D86C9D40 B1000017
	v_mfma_f32_16x16x16_bf16 a[120:123], a[100:101], v[76:77], a[120:123]// 0000000064E4: D3E18078 0DE29964
	s_waitcnt lgkmcnt(8)                                       // 0000000064EC: BF8CC87F
	s_barrier                                                  // 0000000064F0: BF8A0000
	v_mfma_f32_16x16x16_bf16 a[124:127], a[102:103], v[76:77], a[124:127]// 0000000064F4: D3E1807C 0DF29966
	ds_read_b128 v[52:55], v19 offset:17408                    // 0000000064FC: D9FE4400 34000013
	v_mfma_f32_16x16x16_bf16 a[128:131], a[96:97], v[78:79], a[128:131]// 000000006504: D3E18080 0E029D60
	v_mfma_f32_16x16x16_bf16 a[132:135], a[98:99], v[78:79], a[132:135]// 00000000650C: D3E18084 0E129D62
	ds_read_b128 v[56:59], v19 offset:18560                    // 000000006514: D9FE4880 38000013
	v_mfma_f32_16x16x16_bf16 a[136:139], a[100:101], v[78:79], a[136:139]// 00000000651C: D3E18088 0E229D64
	buffer_atomic_add_f32 v157, v7, s[32:35], 0 idxen          // 000000006524: E1342000 80089D07
	v_mfma_f32_16x16x16_bf16 a[140:143], a[102:103], v[78:79], a[140:143]// 00000000652C: D3E1808C 0E329D66
	ds_read_b128 v[60:63], v19 offset:19712                    // 000000006534: D9FE4D00 3C000013
	v_mfma_f32_16x16x16_bf16 a[144:147], a[96:97], v[80:81], a[144:147]// 00000000653C: D3E18090 0E42A160
	v_mfma_f32_16x16x16_bf16 a[148:151], a[98:99], v[80:81], a[148:151]// 000000006544: D3E18094 0E52A162
	ds_read_b128 v[64:67], v19 offset:20864                    // 00000000654C: D9FE5180 40000013
	v_mfma_f32_16x16x16_bf16 a[152:155], a[100:101], v[80:81], a[152:155]// 000000006554: D3E18098 0E62A164
	v_mfma_f32_16x16x16_bf16 a[156:159], a[102:103], v[80:81], a[156:159]// 00000000655C: D3E1809C 0E72A166
	ds_read_b128 v[68:71], v19 offset:22016                    // 000000006564: D9FE5600 44000013
	v_mfma_f32_16x16x16_bf16 a[112:115], a[104:105], v[82:83], a[112:115]// 00000000656C: D3E18070 0DC2A568
	buffer_atomic_add_f32 v158, v6, s[32:35], 0 idxen offset:128// 000000006574: E1342080 80089E06
	v_mfma_f32_16x16x16_bf16 a[116:119], a[106:107], v[82:83], a[116:119]// 00000000657C: D3E18074 0DD2A56A
	ds_read_b128 v[72:75], v19 offset:23168                    // 000000006584: D9FE5A80 48000013
	v_mfma_f32_16x16x16_bf16 a[120:123], a[108:109], v[82:83], a[120:123]// 00000000658C: D3E18078 0DE2A56C
	v_mfma_f32_16x16x16_bf16 a[124:127], a[110:111], v[82:83], a[124:127]// 000000006594: D3E1807C 0DF2A56E
	ds_write_b32 v15, v104 offset:13056                        // 00000000659C: D81A3300 0000680F
	v_mfma_f32_16x16x16_bf16 a[128:131], a[104:105], v[84:85], a[128:131]// 0000000065A4: D3E18080 0E02A968
	v_mfma_f32_16x16x16_bf16 a[132:135], a[106:107], v[84:85], a[132:135]// 0000000065AC: D3E18084 0E12A96A
	ds_write_b32 v15, v105 offset:14112                        // 0000000065B4: D81A3720 0000690F
	v_mfma_f32_16x16x16_bf16 a[136:139], a[108:109], v[84:85], a[136:139]// 0000000065BC: D3E18088 0E22A96C
	buffer_atomic_add_f32 v159, v7, s[32:35], 0 idxen offset:128// 0000000065C4: E1342080 80089F07
	v_mfma_f32_16x16x16_bf16 a[140:143], a[110:111], v[84:85], a[140:143]// 0000000065CC: D3E1808C 0E32A96E
	ds_write_b32 v15, v106 offset:15232                        // 0000000065D4: D81A3B80 00006A0F
	v_mfma_f32_16x16x16_bf16 a[144:147], a[104:105], v[86:87], a[144:147]// 0000000065DC: D3E18090 0E42AD68
	v_mfma_f32_16x16x16_bf16 a[148:151], a[106:107], v[86:87], a[148:151]// 0000000065E4: D3E18094 0E52AD6A
	ds_write_b32 v15, v107 offset:16288                        // 0000000065EC: D81A3FA0 00006B0F
	v_mfma_f32_16x16x16_bf16 a[152:155], a[108:109], v[86:87], a[152:155]// 0000000065F4: D3E18098 0E62AD6C
	v_mfma_f32_16x16x16_bf16 a[156:159], a[110:111], v[86:87], a[156:159]// 0000000065FC: D3E1809C 0E72AD6E
	s_waitcnt vmcnt(8) lgkmcnt(4)                              // 000000006604: BF8C0478
	s_barrier                                                  // 000000006608: BF8A0000
	v_mfma_f32_16x16x16_bf16 v[148:151], v[52:53], a[24:25], 0 // 00000000660C: D3E10094 12023134
	v_mul_f32_e32 v140, s48, v140                              // 000000006614: 0B191830
	v_mul_f32_e32 v144, s48, v144                              // 000000006618: 0B212030
	s_nop 0                                                    // 00000000661C: BF800000
	v_mfma_f32_16x16x16_bf16 v[148:151], v[54:55], a[28:29], v[148:151]// 000000006620: D3E10094 16523936
	ds_read_b128 a[96:99], v12                                 // 000000006628: DBFE0000 6000000C
	buffer_load_dword v40, v1, s[8:11], 0 idxen                // 000000006630: E0502000 80022801
	v_mfma_f32_16x16x16_bf16 v[148:151], v[56:57], a[32:33], v[148:151]// 000000006638: D3E10094 16524138
	v_mfma_f32_16x16x16_bf16 v[148:151], v[58:59], a[36:37], v[148:151]// 000000006640: D3E10094 1652493A
	ds_read_b128 a[100:103], v12 offset:512                    // 000000006648: DBFE0200 6400000C
	buffer_load_dword v41, v2, s[8:11], 0 idxen                // 000000006650: E0502000 80022902
	v_mfma_f32_16x16x16_bf16 v[148:151], v[60:61], a[40:41], v[148:151]// 000000006658: D3E10094 1652513C
	v_perm_b32 v100, v37, v36, s63                             // 000000006660: D1ED0064 00FE4925
	v_perm_b32 v101, v37, v36, s64                             // 000000006668: D1ED0065 01024925
	v_mfma_f32_16x16x16_bf16 v[148:151], v[62:63], a[44:45], v[148:151]// 000000006670: D3E10094 1652593E
	ds_read_b128 a[104:107], v12 offset:2176                   // 000000006678: DBFE0880 6800000C
	buffer_load_dword v42, v3, s[8:11], 0 idxen                // 000000006680: E0502000 80022A03
	v_mfma_f32_16x16x16_bf16 v[148:151], v[64:65], a[48:49], v[148:151]// 000000006688: D3E10094 16526140
	v_perm_b32 v102, v39, v38, s63                             // 000000006690: D1ED0066 00FE4D27
	v_perm_b32 v103, v39, v38, s64                             // 000000006698: D1ED0067 01024D27
	v_mfma_f32_16x16x16_bf16 v[148:151], v[66:67], a[52:53], v[148:151]// 0000000066A0: D3E10094 16526942
	ds_read_b128 a[108:111], v12 offset:2688                   // 0000000066A8: DBFE0A80 6C00000C
	buffer_load_dword v43, v4, s[8:11], 0 idxen                // 0000000066B0: E0502000 80022B04
	v_mfma_f32_16x16x16_bf16 v[148:151], v[68:69], a[56:57], v[148:151]// 0000000066B8: D3E10094 16527144
	v_perm_b32 v104, v45, v44, s63                             // 0000000066C0: D1ED0068 00FE592D
	v_perm_b32 v105, v45, v44, s64                             // 0000000066C8: D1ED0069 0102592D
	v_mfma_f32_16x16x16_bf16 v[148:151], v[70:71], a[60:61], v[148:151]// 0000000066D0: D3E10094 16527946
	ds_read_b128 v[108:111], v12 offset:8704                   // 0000000066D8: D9FE2200 6C00000C
	buffer_load_dword v48, v231, s[20:23], 0 idxen             // 0000000066E0: E0502000 800530E7
	v_mfma_f32_16x16x16_bf16 v[148:151], v[72:73], a[64:65], v[148:151]// 0000000066E8: D3E10094 16528148
	v_perm_b32 v106, v47, v46, s63                             // 0000000066F0: D1ED006A 00FE5D2F
	v_perm_b32 v107, v47, v46, s64                             // 0000000066F8: D1ED006B 01025D2F
	v_mfma_f32_16x16x16_bf16 v[148:151], v[74:75], a[68:69], v[148:151]// 000000006700: D3E10094 1652894A
	ds_read_b128 v[112:115], v12 offset:9216                   // 000000006708: D9FE2400 7000000C
	buffer_load_dword v49, v232, s[20:23], 0 idxen             // 000000006710: E0502000 800531E8
	v_mfma_f32_16x16x16_bf16 v[152:155], v[52:53], a[26:27], 0 // 000000006718: D3E10098 12023534
	v_mov_b32_dpp v143, v140 quad_perm:[3,3,3,3] row_mask:0xf bank_mask:0xf// 000000006720: 7F1E02FA FF00FF8C
	v_mov_b32_dpp v142, v140 quad_perm:[2,2,2,2] row_mask:0xf bank_mask:0xf// 000000006728: 7F1C02FA FF00AA8C
	v_mov_b32_dpp v141, v140 quad_perm:[1,1,1,1] row_mask:0xf bank_mask:0xf// 000000006730: 7F1A02FA FF00558C
	v_mov_b32_dpp v140, v140 quad_perm:[0,0,0,0] row_mask:0xf bank_mask:0xf// 000000006738: 7F1802FA FF00008C
	v_mfma_f32_16x16x16_bf16 v[152:155], v[54:55], a[30:31], v[152:155]// 000000006740: D3E10098 16623D36
	ds_read_b128 v[116:119], v12 offset:10880                  // 000000006748: D9FE2A80 7400000C
	buffer_load_dword v50, v233, s[20:23], 0 idxen             // 000000006750: E0502000 800532E9
	v_mfma_f32_16x16x16_bf16 v[152:155], v[56:57], a[34:35], v[152:155]// 000000006758: D3E10098 16624538
	v_mov_b32_dpp v147, v144 quad_perm:[3,3,3,3] row_mask:0xf bank_mask:0xf// 000000006760: 7F2602FA FF00FF90
	v_mov_b32_dpp v146, v144 quad_perm:[2,2,2,2] row_mask:0xf bank_mask:0xf// 000000006768: 7F2402FA FF00AA90
	v_mov_b32_dpp v145, v144 quad_perm:[1,1,1,1] row_mask:0xf bank_mask:0xf// 000000006770: 7F2202FA FF005590
	v_mov_b32_dpp v144, v144 quad_perm:[0,0,0,0] row_mask:0xf bank_mask:0xf// 000000006778: 7F2002FA FF000090
	s_add_u32 s60, 0x80, s59                                   // 000000006780: 803C3BFF 00000080
	v_mfma_f32_16x16x16_bf16 v[152:155], v[58:59], a[38:39], v[152:155]// 000000006788: D3E10098 16624D3A
	ds_read_b128 v[120:123], v12 offset:11392                  // 000000006790: D9FE2C80 7800000C
	buffer_load_dword v51, v234, s[20:23], 0 idxen             // 000000006798: E0502000 800533EA
	v_mfma_f32_16x16x16_bf16 v[152:155], v[60:61], a[42:43], v[152:155]// 0000000067A0: D3E10098 1662553C
	s_cmp_lt_u32 s60, s58                                      // 0000000067A8: BF0A3A3C
	s_cselect_b32 s68, s68, 0                                  // 0000000067AC: 85448044
	s_cselect_b32 s81, s81, 0                                  // 0000000067B0: 85518051
	s_cselect_b32 s69, s69, 0                                  // 0000000067B4: 85458045
	v_mfma_f32_16x16x16_bf16 v[152:155], v[62:63], a[46:47], v[152:155]// 0000000067B8: D3E10098 16625D3E
	buffer_load_dword v11, s[24:27], 0 idxen lds               // 0000000067C0: E0512000 8006000B
	v_mfma_f32_16x16x16_bf16 v[152:155], v[64:65], a[50:51], v[152:155]// 0000000067C8: D3E10098 16626540
	v_add_u32_e32 v1, s68, v1                                  // 0000000067D0: 68020244
	v_add_u32_e32 v2, s68, v2                                  // 0000000067D4: 68040444
	v_add_u32_e32 v3, s68, v3                                  // 0000000067D8: 68060644
	v_add_u32_e32 v4, s68, v4                                  // 0000000067DC: 68080844
	v_mfma_f32_16x16x16_bf16 v[152:155], v[66:67], a[54:55], v[152:155]// 0000000067E0: D3E10098 16626D42
	v_add_u32_e32 v231, s81, v231                              // 0000000067E8: 69CFCE51
	v_add_u32_e32 v232, s81, v232                              // 0000000067EC: 69D1D051
	v_add_u32_e32 v233, s81, v233                              // 0000000067F0: 69D3D251
	v_add_u32_e32 v234, s81, v234                              // 0000000067F4: 69D5D451
	v_mfma_f32_16x16x16_bf16 v[152:155], v[68:69], a[58:59], v[152:155]// 0000000067F8: D3E10098 16627544
	s_mov_b32 m0, s76                                          // 000000006800: BEFC004C
	v_add_u32_e32 v11, s69, v11                                // 000000006804: 68161645
	v_mfma_f32_16x16x16_bf16 v[152:155], v[70:71], a[62:63], v[152:155]// 000000006808: D3E10098 16627D46
	s_cmp_ge_u32 s59, 32                                       // 000000006810: BF09A03B
	s_cselect_b32 s66, s67, s66                                // 000000006814: 85424243
	v_mfma_f32_16x16x16_bf16 v[152:155], v[72:73], a[66:67], v[152:155]// 000000006818: D3E10098 16628548
	s_addk_i32 s59, 0x20                                       // 000000006820: B73B0020
	s_nop 0                                                    // 000000006824: BF800000
	s_cmp_lt_i32 s59, s58                                      // 000000006828: BF043A3B
	v_mfma_f32_16x16x16_bf16 v[152:155], v[74:75], a[70:71], v[152:155]// 00000000682C: D3E10098 16628D4A
	s_cbranch_scc0 label_0F02                                  // 000000006834: BF840462
	s_waitcnt lgkmcnt(4)                                       // 000000006838: BF8CC47F
	s_barrier                                                  // 00000000683C: BF8A0000
	v_mfma_f32_16x16x16_bf16 v[52:55], a[96:97], a[0:1], 0     // 000000006840: D3E10034 1A020160
	ds_write_b32 v13, v44 offset:8704                          // 000000006848: D81A2200 00002C0D
	ds_write_b32 v13, v45 offset:9760                          // 000000006850: D81A2620 00002D0D
	v_mfma_f32_16x16x16_bf16 v[52:55], a[98:99], a[2:3], v[52:55]// 000000006858: D3E10034 1CD20562
	v_mul_f32_e32 v148, s47, v148                              // 000000006860: 0B29282F
	v_mul_f32_e32 v149, s47, v149                              // 000000006864: 0B2B2A2F
	v_mfma_f32_16x16x16_bf16 v[52:55], a[100:101], a[4:5], v[52:55]// 000000006868: D3E10034 1CD20964
	ds_write_b32 v13, v46 offset:10880                         // 000000006870: D81A2A80 00002E0D
	ds_write_b32 v13, v47 offset:11936                         // 000000006878: D81A2EA0 00002F0D
	v_mfma_f32_16x16x16_bf16 v[52:55], a[102:103], a[6:7], v[52:55]// 000000006880: D3E10034 1CD20D66
	v_mul_f32_e32 v150, s47, v150                              // 000000006888: 0B2D2C2F
	v_mul_f32_e32 v151, s47, v151                              // 00000000688C: 0B2F2E2F
	v_mfma_f32_16x16x16_bf16 v[56:59], a[96:97], a[8:9], 0     // 000000006890: D3E10038 1A021160
	ds_write_b64 v22, v[148:149] offset:31232                  // 000000006898: D89A7A00 00009416
	v_mfma_f32_16x16x16_bf16 v[56:59], a[98:99], a[10:11], v[56:59]// 0000000068A0: D3E10038 1CE21562
	v_mul_f32_e32 v152, s47, v152                              // 0000000068A8: 0B31302F
	v_mul_f32_e32 v153, s47, v153                              // 0000000068AC: 0B33322F
	v_mfma_f32_16x16x16_bf16 v[56:59], a[100:101], a[12:13], v[56:59]// 0000000068B0: D3E10038 1CE21964
	ds_write_b64 v22, v[150:151] offset:31744                  // 0000000068B8: D89A7C00 00009616
	v_mfma_f32_16x16x16_bf16 v[56:59], a[102:103], a[14:15], v[56:59]// 0000000068C0: D3E10038 1CE21D66
	v_mul_f32_e32 v154, s47, v154                              // 0000000068C8: 0B35342F
	v_mul_f32_e32 v155, s47, v155                              // 0000000068CC: 0B37362F
	v_mfma_f32_16x16x16_bf16 v[60:63], a[96:97], a[16:17], 0   // 0000000068D0: D3E1003C 1A022160
	ds_write_b64 v22, v[152:153] offset:32256                  // 0000000068D8: D89A7E00 00009816
	v_mfma_f32_16x16x16_bf16 v[60:63], a[98:99], a[18:19], v[60:63]// 0000000068E0: D3E1003C 1CF22562
	buffer_atomic_add_f32 v160, v8, s[32:35], 0 idxen          // 0000000068E8: E1342000 8008A008
	v_mfma_f32_16x16x16_bf16 v[60:63], a[100:101], a[20:21], v[60:63]// 0000000068F0: D3E1003C 1CF22964
	ds_write_b64 v22, v[154:155] offset:32768                  // 0000000068F8: D89A8000 00009A16
	v_mfma_f32_16x16x16_bf16 v[60:63], a[102:103], a[22:23], v[60:63]// 000000006900: D3E1003C 1CF22D66
	v_mfma_f32_16x16x16_bf16 v[64:67], a[104:105], a[0:1], 0   // 000000006908: D3E10040 1A020168
	ds_read_b128 v[124:127], v14 offset:13056                  // 000000006910: D9FE3300 7C00000E
	ds_write_b32 v13, v36                                      // 000000006918: D81A0000 0000240D
	v_mfma_f32_16x16x16_bf16 v[64:67], a[106:107], a[2:3], v[64:67]// 000000006920: D3E10040 1D02056A
	buffer_atomic_add_f32 v161, v9, s[32:35], 0 idxen          // 000000006928: E1342000 8008A109
	v_mfma_f32_16x16x16_bf16 v[64:67], a[108:109], a[4:5], v[64:67]// 000000006930: D3E10040 1D02096C
	v_mfma_f32_16x16x16_bf16 v[64:67], a[110:111], a[6:7], v[64:67]// 000000006938: D3E10040 1D020D6E
	ds_read_b128 v[128:131], v14 offset:13568                  // 000000006940: D9FE3500 8000000E
	ds_write_b32 v13, v37 offset:1056                          // 000000006948: D81A0420 0000250D
	v_mfma_f32_16x16x16_bf16 v[68:71], a[104:105], a[8:9], 0   // 000000006950: D3E10044 1A021168
	buffer_atomic_add_f32 v162, v8, s[32:35], 0 idxen offset:128// 000000006958: E1342080 8008A208
	v_mfma_f32_16x16x16_bf16 v[68:71], a[106:107], a[10:11], v[68:71]// 000000006960: D3E10044 1D12156A
	v_mfma_f32_16x16x16_bf16 v[68:71], a[108:109], a[12:13], v[68:71]// 000000006968: D3E10044 1D12196C
	ds_read_b128 v[132:135], v14 offset:15232                  // 000000006970: D9FE3B80 8400000E
	ds_write_b32 v13, v38 offset:2176                          // 000000006978: D81A0880 0000260D
	v_mfma_f32_16x16x16_bf16 v[68:71], a[110:111], a[14:15], v[68:71]// 000000006980: D3E10044 1D121D6E
	v_mfma_f32_16x16x16_bf16 v[72:75], a[104:105], a[16:17], 0 // 000000006988: D3E10048 1A022168
	buffer_atomic_add_f32 v163, v9, s[32:35], 0 idxen offset:128// 000000006990: E1342080 8008A309
	v_mfma_f32_16x16x16_bf16 v[72:75], a[106:107], a[18:19], v[72:75]// 000000006998: D3E10048 1D22256A
	ds_read_b128 v[136:139], v14 offset:15744                  // 0000000069A0: D9FE3D80 8800000E
	ds_write_b32 v13, v39 offset:3232                          // 0000000069A8: D81A0CA0 0000270D
	v_mfma_f32_16x16x16_bf16 v[72:75], a[108:109], a[20:21], v[72:75]// 0000000069B0: D3E10048 1D22296C
	v_mfma_f32_16x16x16_bf16 v[72:75], a[110:111], a[22:23], v[72:75]// 0000000069B8: D3E10048 1D222D6E
	s_cmp_lt_i32 s83, 0xc0                                     // 0000000069C0: BF04FF53 000000C0
	s_cbranch_scc0 label_0B72                                  // 0000000069C8: BF84006D
	s_cmp_le_i32 s83, 64                                       // 0000000069CC: BF05C053
	s_cbranch_scc1 label_0B05                                  // 0000000069D0: BF850007
	s_cmp_le_i32 s83, 0x80                                     // 0000000069D4: BF05FF53 00000080
	s_cbranch_scc1 label_0B29                                  // 0000000069DC: BF85001F
	s_cmp_lt_i32 s83, 0xc0                                     // 0000000069E0: BF04FF53 000000C0
	s_cbranch_scc1 label_0B4D                                  // 0000000069E8: BF850040
	s_branch label_0B72                                        // 0000000069EC: BF820064

00000000000069f0 <label_0B05>:
	s_mov_b32 s60, 0                                           // 0000000069F0: BEBC0080
	v_and_b32_e32 v32, 15, v0                                  // 0000000069F4: 2640008F
	v_add_u32_e64 v32, v32, s60                                // 0000000069F8: D1340020 00007920
	v_mul_i32_i24_e64 v33, s46, 16                             // 000000006A00: D1060021 0001202E
	v_add_u32_e32 v32, v32, v33                                // 000000006A08: 68404320
	v_cmp_lt_u32_e64 s[60:61], v32, s83                        // 000000006A0C: D0C9003C 0000A720
	s_nop 1                                                    // 000000006A14: BF800001
	v_cndmask_b32_e64 v52, v230, v52, s[60:61]                 // 000000006A18: D1000034 00F269E6
	v_cndmask_b32_e64 v64, v230, v64, s[60:61]                 // 000000006A20: D1000040 00F281E6
	v_cndmask_b32_e64 v53, v230, v53, s[60:61]                 // 000000006A28: D1000035 00F26BE6
	v_cndmask_b32_e64 v65, v230, v65, s[60:61]                 // 000000006A30: D1000041 00F283E6
	v_cndmask_b32_e64 v54, v230, v54, s[60:61]                 // 000000006A38: D1000036 00F26DE6
	v_cndmask_b32_e64 v66, v230, v66, s[60:61]                 // 000000006A40: D1000042 00F285E6
	v_cndmask_b32_e64 v55, v230, v55, s[60:61]                 // 000000006A48: D1000037 00F26FE6
	v_cndmask_b32_e64 v67, v230, v67, s[60:61]                 // 000000006A50: D1000043 00F287E6
	s_branch label_0B44                                        // 000000006A58: BF82001B

0000000000006a5c <label_0B29>:
	s_mov_b32 s60, 64                                          // 000000006A5C: BEBC00C0
	v_and_b32_e32 v32, 15, v0                                  // 000000006A60: 2640008F
	v_add_u32_e64 v32, v32, s60                                // 000000006A64: D1340020 00007920
	v_mul_i32_i24_e64 v33, s46, 16                             // 000000006A6C: D1060021 0001202E
	v_add_u32_e32 v32, v32, v33                                // 000000006A74: 68404320
	v_cmp_lt_u32_e64 s[60:61], v32, s83                        // 000000006A78: D0C9003C 0000A720
	s_nop 1                                                    // 000000006A80: BF800001
	v_cndmask_b32_e64 v56, v230, v56, s[60:61]                 // 000000006A84: D1000038 00F271E6
	v_cndmask_b32_e64 v68, v230, v68, s[60:61]                 // 000000006A8C: D1000044 00F289E6
	v_cndmask_b32_e64 v57, v230, v57, s[60:61]                 // 000000006A94: D1000039 00F273E6
	v_cndmask_b32_e64 v69, v230, v69, s[60:61]                 // 000000006A9C: D1000045 00F28BE6
	v_cndmask_b32_e64 v58, v230, v58, s[60:61]                 // 000000006AA4: D100003A 00F275E6
	v_cndmask_b32_e64 v70, v230, v70, s[60:61]                 // 000000006AAC: D1000046 00F28DE6
	v_cndmask_b32_e64 v59, v230, v59, s[60:61]                 // 000000006AB4: D100003B 00F277E6
	v_cndmask_b32_e64 v71, v230, v71, s[60:61]                 // 000000006ABC: D1000047 00F28FE6
	s_branch label_0B69                                        // 000000006AC4: BF820025

0000000000006ac8 <label_0B44>:
	v_mov_b32_e32 v56, v230                                    // 000000006AC8: 7E7003E6
	v_mov_b32_e32 v68, v230                                    // 000000006ACC: 7E8803E6
	v_mov_b32_e32 v57, v230                                    // 000000006AD0: 7E7203E6
	v_mov_b32_e32 v69, v230                                    // 000000006AD4: 7E8A03E6
	v_mov_b32_e32 v58, v230                                    // 000000006AD8: 7E7403E6
	v_mov_b32_e32 v70, v230                                    // 000000006ADC: 7E8C03E6
	v_mov_b32_e32 v59, v230                                    // 000000006AE0: 7E7603E6
	v_mov_b32_e32 v71, v230                                    // 000000006AE4: 7E8E03E6
	s_branch label_0B69                                        // 000000006AE8: BF82001C

0000000000006aec <label_0B4D>:
	s_mov_b32 s60, 0x80                                        // 000000006AEC: BEBC00FF 00000080
	v_and_b32_e32 v32, 15, v0                                  // 000000006AF4: 2640008F
	v_add_u32_e64 v32, v32, s60                                // 000000006AF8: D1340020 00007920
	v_mul_i32_i24_e64 v33, s46, 16                             // 000000006B00: D1060021 0001202E
	v_add_u32_e32 v32, v32, v33                                // 000000006B08: 68404320
	v_cmp_lt_u32_e64 s[60:61], v32, s83                        // 000000006B0C: D0C9003C 0000A720
	s_nop 1                                                    // 000000006B14: BF800001
	v_cndmask_b32_e64 v60, v230, v60, s[60:61]                 // 000000006B18: D100003C 00F279E6
	v_cndmask_b32_e64 v72, v230, v72, s[60:61]                 // 000000006B20: D1000048 00F291E6
	v_cndmask_b32_e64 v61, v230, v61, s[60:61]                 // 000000006B28: D100003D 00F27BE6
	v_cndmask_b32_e64 v73, v230, v73, s[60:61]                 // 000000006B30: D1000049 00F293E6
	v_cndmask_b32_e64 v62, v230, v62, s[60:61]                 // 000000006B38: D100003E 00F27DE6
	v_cndmask_b32_e64 v74, v230, v74, s[60:61]                 // 000000006B40: D100004A 00F295E6
	v_cndmask_b32_e64 v63, v230, v63, s[60:61]                 // 000000006B48: D100003F 00F27FE6
	v_cndmask_b32_e64 v75, v230, v75, s[60:61]                 // 000000006B50: D100004B 00F297E6
	s_branch label_0B72                                        // 000000006B58: BF820009

0000000000006b5c <label_0B69>:
	v_mov_b32_e32 v60, v230                                    // 000000006B5C: 7E7803E6
	v_mov_b32_e32 v72, v230                                    // 000000006B60: 7E9003E6
	v_mov_b32_e32 v61, v230                                    // 000000006B64: 7E7A03E6
	v_mov_b32_e32 v73, v230                                    // 000000006B68: 7E9203E6
	v_mov_b32_e32 v62, v230                                    // 000000006B6C: 7E7C03E6
	v_mov_b32_e32 v74, v230                                    // 000000006B70: 7E9403E6
	v_mov_b32_e32 v63, v230                                    // 000000006B74: 7E7E03E6
	v_mov_b32_e32 v75, v230                                    // 000000006B78: 7E9603E6
	s_branch label_0B72                                        // 000000006B7C: BF820000

0000000000006b80 <label_0B72>:
	s_waitcnt lgkmcnt(8)                                       // 000000006B80: BF8CC87F
	s_barrier                                                  // 000000006B84: BF8A0000
	v_mfma_f32_16x16x16_bf16 v[76:79], v[108:109], a[72:73], 0 // 000000006B88: D3E1004C 1202916C
	ds_read_b128 a[96:99], v14 offset:4352                     // 000000006B90: DBFE1100 6000000E
	ds_read_b128 a[100:103], v14 offset:4864                   // 000000006B98: DBFE1300 6400000E
	v_mfma_f32_16x16x16_bf16 v[76:79], v[110:111], a[74:75], v[76:79]// 000000006BA0: D3E1004C 1532956E
	v_fma_f32 v52, v52, s57, -v140                             // 000000006BA8: D1CB0034 86307334
	v_fma_f32 v53, v53, s57, -v141                             // 000000006BB0: D1CB0035 86347335
	v_fma_f32 v54, v54, s57, -v142                             // 000000006BB8: D1CB0036 86387336
	v_fma_f32 v55, v55, s57, -v143                             // 000000006BC0: D1CB0037 863C7337
	v_fma_f32 v56, v56, s57, -v140                             // 000000006BC8: D1CB0038 86307338
	v_fma_f32 v57, v57, s57, -v141                             // 000000006BD0: D1CB0039 86347339
	v_mfma_f32_16x16x16_bf16 v[76:79], v[112:113], a[76:77], v[76:79]// 000000006BD8: D3E1004C 15329970
	v_fma_f32 v58, v58, s57, -v142                             // 000000006BE0: D1CB003A 8638733A
	v_fma_f32 v59, v59, s57, -v143                             // 000000006BE8: D1CB003B 863C733B
	v_fma_f32 v60, v60, s57, -v140                             // 000000006BF0: D1CB003C 8630733C
	v_fma_f32 v61, v61, s57, -v141                             // 000000006BF8: D1CB003D 8634733D
	v_fma_f32 v62, v62, s57, -v142                             // 000000006C00: D1CB003E 8638733E
	v_fma_f32 v63, v63, s57, -v143                             // 000000006C08: D1CB003F 863C733F
	v_mfma_f32_16x16x16_bf16 v[76:79], v[114:115], a[78:79], v[76:79]// 000000006C10: D3E1004C 15329D72
	v_fma_f32 v64, v64, s57, -v144                             // 000000006C18: D1CB0040 86407340
	v_fma_f32 v65, v65, s57, -v145                             // 000000006C20: D1CB0041 86447341
	v_fma_f32 v66, v66, s57, -v146                             // 000000006C28: D1CB0042 86487342
	v_fma_f32 v67, v67, s57, -v147                             // 000000006C30: D1CB0043 864C7343
	v_fma_f32 v68, v68, s57, -v144                             // 000000006C38: D1CB0044 86407344
	v_fma_f32 v69, v69, s57, -v145                             // 000000006C40: D1CB0045 86447345
	v_mfma_f32_16x16x16_bf16 v[80:83], v[108:109], a[80:81], 0 // 000000006C48: D3E10050 1202A16C
	ds_read_b128 a[104:107], v14 offset:6528                   // 000000006C50: DBFE1980 6800000E
	ds_read_b128 a[108:111], v14 offset:7040                   // 000000006C58: DBFE1B80 6C00000E
	v_mfma_f32_16x16x16_bf16 v[80:83], v[110:111], a[82:83], v[80:83]// 000000006C60: D3E10050 1542A56E
	v_fma_f32 v70, v70, s57, -v146                             // 000000006C68: D1CB0046 86487346
	v_fma_f32 v71, v71, s57, -v147                             // 000000006C70: D1CB0047 864C7347
	v_fma_f32 v72, v72, s57, -v144                             // 000000006C78: D1CB0048 86407348
	v_fma_f32 v73, v73, s57, -v145                             // 000000006C80: D1CB0049 86447349
	v_fma_f32 v74, v74, s57, -v146                             // 000000006C88: D1CB004A 8648734A
	v_fma_f32 v75, v75, s57, -v147                             // 000000006C90: D1CB004B 864C734B
	v_mfma_f32_16x16x16_bf16 v[80:83], v[112:113], a[84:85], v[80:83]// 000000006C98: D3E10050 1542A970
	v_exp_f32_e32 v52, v52                                     // 000000006CA0: 7E684134
	v_exp_f32_e32 v53, v53                                     // 000000006CA4: 7E6A4135
	v_mfma_f32_16x16x16_bf16 v[80:83], v[114:115], a[86:87], v[80:83]// 000000006CA8: D3E10050 1542AD72
	v_exp_f32_e32 v54, v54                                     // 000000006CB0: 7E6C4136
	v_exp_f32_e32 v55, v55                                     // 000000006CB4: 7E6E4137
	v_mfma_f32_16x16x16_bf16 v[84:87], v[108:109], a[88:89], 0 // 000000006CB8: D3E10054 1202B16C
	ds_read_b64 v[156:157], v21 offset:31232                   // 000000006CC0: D8EC7A00 9C000015
	ds_read_b64 v[158:159], v21 offset:33280                   // 000000006CC8: D8EC8200 9E000015
	v_mfma_f32_16x16x16_bf16 v[84:87], v[110:111], a[90:91], v[84:87]// 000000006CD0: D3E10054 1552B56E
	v_exp_f32_e32 v56, v56                                     // 000000006CD8: 7E704138
	v_exp_f32_e32 v57, v57                                     // 000000006CDC: 7E724139
	v_mfma_f32_16x16x16_bf16 v[84:87], v[112:113], a[92:93], v[84:87]// 000000006CE0: D3E10054 1552B970
	ds_read_b64 v[160:161], v21 offset:35328                   // 000000006CE8: D8EC8A00 A0000015
	ds_read_b64 v[162:163], v21 offset:37376                   // 000000006CF0: D8EC9200 A2000015
	v_mfma_f32_16x16x16_bf16 v[84:87], v[114:115], a[94:95], v[84:87]// 000000006CF8: D3E10054 1552BD72
	v_exp_f32_e32 v58, v58                                     // 000000006D00: 7E74413A
	v_exp_f32_e32 v59, v59                                     // 000000006D04: 7E76413B
	v_mfma_f32_16x16x16_bf16 v[88:91], v[116:117], a[72:73], 0 // 000000006D08: D3E10058 12029174
	v_exp_f32_e32 v60, v60                                     // 000000006D10: 7E78413C
	v_exp_f32_e32 v61, v61                                     // 000000006D14: 7E7A413D
	v_mfma_f32_16x16x16_bf16 v[88:91], v[118:119], a[74:75], v[88:91]// 000000006D18: D3E10058 15629576
	v_exp_f32_e32 v62, v62                                     // 000000006D20: 7E7C413E
	v_exp_f32_e32 v63, v63                                     // 000000006D24: 7E7E413F
	v_mfma_f32_16x16x16_bf16 v[88:91], v[120:121], a[76:77], v[88:91]// 000000006D28: D3E10058 15629978
	v_exp_f32_e32 v64, v64                                     // 000000006D30: 7E804140
	v_exp_f32_e32 v65, v65                                     // 000000006D34: 7E824141
	v_mfma_f32_16x16x16_bf16 v[88:91], v[122:123], a[78:79], v[88:91]// 000000006D38: D3E10058 15629D7A
	v_exp_f32_e32 v66, v66                                     // 000000006D40: 7E844142
	v_exp_f32_e32 v67, v67                                     // 000000006D44: 7E864143
	v_mfma_f32_16x16x16_bf16 v[92:95], v[116:117], a[80:81], 0 // 000000006D48: D3E1005C 1202A174
	v_exp_f32_e32 v68, v68                                     // 000000006D50: 7E884144
	v_exp_f32_e32 v69, v69                                     // 000000006D54: 7E8A4145
	v_mfma_f32_16x16x16_bf16 v[92:95], v[118:119], a[82:83], v[92:95]// 000000006D58: D3E1005C 1572A576
	v_exp_f32_e32 v70, v70                                     // 000000006D60: 7E8C4146
	v_exp_f32_e32 v71, v71                                     // 000000006D64: 7E8E4147
	v_mfma_f32_16x16x16_bf16 v[92:95], v[120:121], a[84:85], v[92:95]// 000000006D68: D3E1005C 1572A978
	v_exp_f32_e32 v72, v72                                     // 000000006D70: 7E904148
	v_exp_f32_e32 v73, v73                                     // 000000006D74: 7E924149
	v_mfma_f32_16x16x16_bf16 v[92:95], v[122:123], a[86:87], v[92:95]// 000000006D78: D3E1005C 1572AD7A
	v_exp_f32_e32 v74, v74                                     // 000000006D80: 7E94414A
	v_exp_f32_e32 v75, v75                                     // 000000006D84: 7E96414B
	v_mfma_f32_16x16x16_bf16 v[96:99], v[116:117], a[88:89], 0 // 000000006D88: D3E10060 1202B174
	v_cmp_u_f32_e64 s[74:75], v52, v52                         // 000000006D90: D048004A 00026934
	v_add3_u32 v226, v52, v229, 1                              // 000000006D98: D1FF00E2 0207CB34
	v_cndmask_b32_e64 v32, v226, v228, s[74:75]                // 000000006DA0: D1000020 012BC9E2
	v_cmp_u_f32_e64 s[74:75], v53, v53                         // 000000006DA8: D048004A 00026B35
	v_add3_u32 v226, v53, v229, 1                              // 000000006DB0: D1FF00E2 0207CB35
	v_cndmask_b32_e64 v33, v226, v228, s[74:75]                // 000000006DB8: D1000021 012BC9E2
	v_perm_b32 v164, v33, v32, s64                             // 000000006DC0: D1ED00A4 01024121
	v_cmp_u_f32_e64 s[74:75], v54, v54                         // 000000006DC8: D048004A 00026D36
	v_add3_u32 v226, v54, v229, 1                              // 000000006DD0: D1FF00E2 0207CB36
	v_cndmask_b32_e64 v32, v226, v228, s[74:75]                // 000000006DD8: D1000020 012BC9E2
	v_cmp_u_f32_e64 s[74:75], v55, v55                         // 000000006DE0: D048004A 00026F37
	v_add3_u32 v226, v55, v229, 1                              // 000000006DE8: D1FF00E2 0207CB37
	v_cndmask_b32_e64 v33, v226, v228, s[74:75]                // 000000006DF0: D1000021 012BC9E2
	v_perm_b32 v165, v33, v32, s64                             // 000000006DF8: D1ED00A5 01024121
	v_cmp_u_f32_e64 s[74:75], v56, v56                         // 000000006E00: D048004A 00027138
	v_add3_u32 v226, v56, v229, 1                              // 000000006E08: D1FF00E2 0207CB38
	v_cndmask_b32_e64 v32, v226, v228, s[74:75]                // 000000006E10: D1000020 012BC9E2
	v_cmp_u_f32_e64 s[74:75], v57, v57                         // 000000006E18: D048004A 00027339
	v_add3_u32 v226, v57, v229, 1                              // 000000006E20: D1FF00E2 0207CB39
	v_cndmask_b32_e64 v33, v226, v228, s[74:75]                // 000000006E28: D1000021 012BC9E2
	v_perm_b32 v166, v33, v32, s64                             // 000000006E30: D1ED00A6 01024121
	v_cmp_u_f32_e64 s[74:75], v58, v58                         // 000000006E38: D048004A 0002753A
	v_add3_u32 v226, v58, v229, 1                              // 000000006E40: D1FF00E2 0207CB3A
	v_cndmask_b32_e64 v32, v226, v228, s[74:75]                // 000000006E48: D1000020 012BC9E2
	v_cmp_u_f32_e64 s[74:75], v59, v59                         // 000000006E50: D048004A 0002773B
	v_add3_u32 v226, v59, v229, 1                              // 000000006E58: D1FF00E2 0207CB3B
	v_cndmask_b32_e64 v33, v226, v228, s[74:75]                // 000000006E60: D1000021 012BC9E2
	v_perm_b32 v167, v33, v32, s64                             // 000000006E68: D1ED00A7 01024121
	v_cmp_u_f32_e64 s[74:75], v60, v60                         // 000000006E70: D048004A 0002793C
	v_add3_u32 v226, v60, v229, 1                              // 000000006E78: D1FF00E2 0207CB3C
	v_cndmask_b32_e64 v32, v226, v228, s[74:75]                // 000000006E80: D1000020 012BC9E2
	v_cmp_u_f32_e64 s[74:75], v61, v61                         // 000000006E88: D048004A 00027B3D
	v_add3_u32 v226, v61, v229, 1                              // 000000006E90: D1FF00E2 0207CB3D
	v_cndmask_b32_e64 v33, v226, v228, s[74:75]                // 000000006E98: D1000021 012BC9E2
	v_perm_b32 v168, v33, v32, s64                             // 000000006EA0: D1ED00A8 01024121
	v_cmp_u_f32_e64 s[74:75], v62, v62                         // 000000006EA8: D048004A 00027D3E
	v_add3_u32 v226, v62, v229, 1                              // 000000006EB0: D1FF00E2 0207CB3E
	v_cndmask_b32_e64 v32, v226, v228, s[74:75]                // 000000006EB8: D1000020 012BC9E2
	v_cmp_u_f32_e64 s[74:75], v63, v63                         // 000000006EC0: D048004A 00027F3F
	v_add3_u32 v226, v63, v229, 1                              // 000000006EC8: D1FF00E2 0207CB3F
	v_cndmask_b32_e64 v33, v226, v228, s[74:75]                // 000000006ED0: D1000021 012BC9E2
	v_perm_b32 v169, v33, v32, s64                             // 000000006ED8: D1ED00A9 01024121
	v_mfma_f32_16x16x16_bf16 v[96:99], v[118:119], a[90:91], v[96:99]// 000000006EE0: D3E10060 1582B576
	v_cmp_u_f32_e64 s[74:75], v64, v64                         // 000000006EE8: D048004A 00028140
	v_add3_u32 v226, v64, v229, 1                              // 000000006EF0: D1FF00E2 0207CB40
	v_cndmask_b32_e64 v32, v226, v228, s[74:75]                // 000000006EF8: D1000020 012BC9E2
	v_cmp_u_f32_e64 s[74:75], v65, v65                         // 000000006F00: D048004A 00028341
	v_add3_u32 v226, v65, v229, 1                              // 000000006F08: D1FF00E2 0207CB41
	v_cndmask_b32_e64 v33, v226, v228, s[74:75]                // 000000006F10: D1000021 012BC9E2
	v_perm_b32 v170, v33, v32, s64                             // 000000006F18: D1ED00AA 01024121
	v_cmp_u_f32_e64 s[74:75], v66, v66                         // 000000006F20: D048004A 00028542
	v_add3_u32 v226, v66, v229, 1                              // 000000006F28: D1FF00E2 0207CB42
	v_cndmask_b32_e64 v32, v226, v228, s[74:75]                // 000000006F30: D1000020 012BC9E2
	v_cmp_u_f32_e64 s[74:75], v67, v67                         // 000000006F38: D048004A 00028743
	v_add3_u32 v226, v67, v229, 1                              // 000000006F40: D1FF00E2 0207CB43
	v_cndmask_b32_e64 v33, v226, v228, s[74:75]                // 000000006F48: D1000021 012BC9E2
	v_perm_b32 v171, v33, v32, s64                             // 000000006F50: D1ED00AB 01024121
	v_cmp_u_f32_e64 s[74:75], v68, v68                         // 000000006F58: D048004A 00028944
	v_add3_u32 v226, v68, v229, 1                              // 000000006F60: D1FF00E2 0207CB44
	v_cndmask_b32_e64 v32, v226, v228, s[74:75]                // 000000006F68: D1000020 012BC9E2
	v_cmp_u_f32_e64 s[74:75], v69, v69                         // 000000006F70: D048004A 00028B45
	v_add3_u32 v226, v69, v229, 1                              // 000000006F78: D1FF00E2 0207CB45
	v_cndmask_b32_e64 v33, v226, v228, s[74:75]                // 000000006F80: D1000021 012BC9E2
	v_perm_b32 v172, v33, v32, s64                             // 000000006F88: D1ED00AC 01024121
	v_cmp_u_f32_e64 s[74:75], v70, v70                         // 000000006F90: D048004A 00028D46
	v_add3_u32 v226, v70, v229, 1                              // 000000006F98: D1FF00E2 0207CB46
	v_cndmask_b32_e64 v32, v226, v228, s[74:75]                // 000000006FA0: D1000020 012BC9E2
	v_cmp_u_f32_e64 s[74:75], v71, v71                         // 000000006FA8: D048004A 00028F47
	v_add3_u32 v226, v71, v229, 1                              // 000000006FB0: D1FF00E2 0207CB47
	v_cndmask_b32_e64 v33, v226, v228, s[74:75]                // 000000006FB8: D1000021 012BC9E2
	v_perm_b32 v173, v33, v32, s64                             // 000000006FC0: D1ED00AD 01024121
	v_cmp_u_f32_e64 s[74:75], v72, v72                         // 000000006FC8: D048004A 00029148
	v_add3_u32 v226, v72, v229, 1                              // 000000006FD0: D1FF00E2 0207CB48
	v_cndmask_b32_e64 v32, v226, v228, s[74:75]                // 000000006FD8: D1000020 012BC9E2
	v_cmp_u_f32_e64 s[74:75], v73, v73                         // 000000006FE0: D048004A 00029349
	v_add3_u32 v226, v73, v229, 1                              // 000000006FE8: D1FF00E2 0207CB49
	v_cndmask_b32_e64 v33, v226, v228, s[74:75]                // 000000006FF0: D1000021 012BC9E2
	v_perm_b32 v174, v33, v32, s64                             // 000000006FF8: D1ED00AE 01024121
	v_cmp_u_f32_e64 s[74:75], v74, v74                         // 000000007000: D048004A 0002954A
	v_add3_u32 v226, v74, v229, 1                              // 000000007008: D1FF00E2 0207CB4A
	v_cndmask_b32_e64 v32, v226, v228, s[74:75]                // 000000007010: D1000020 012BC9E2
	v_cmp_u_f32_e64 s[74:75], v75, v75                         // 000000007018: D048004A 0002974B
	v_add3_u32 v226, v75, v229, 1                              // 000000007020: D1FF00E2 0207CB4B
	v_cndmask_b32_e64 v33, v226, v228, s[74:75]                // 000000007028: D1000021 012BC9E2
	v_perm_b32 v175, v33, v32, s64                             // 000000007030: D1ED00AF 01024121
	v_mfma_f32_16x16x16_bf16 v[96:99], v[120:121], a[92:93], v[96:99]// 000000007038: D3E10060 1582B978
	v_add_u32_e32 v6, s66, v6                                  // 000000007040: 680C0C42
	v_add_u32_e32 v7, s66, v7                                  // 000000007044: 680E0E42
	v_add_u32_e32 v8, s66, v8                                  // 000000007048: 68101042
	v_add_u32_e32 v9, s66, v9                                  // 00000000704C: 68121242
	v_mfma_f32_16x16x16_bf16 v[96:99], v[122:123], a[94:95], v[96:99]// 000000007050: D3E10060 1582BD7A
	s_waitcnt lgkmcnt(0)                                       // 000000007058: BF8CC07F
	s_barrier                                                  // 00000000705C: BF8A0000
	v_mfma_f32_16x16x16_bf16 v[178:181], v[124:125], v[164:165], v[178:181]// 000000007060: D3E100B2 06CB497C
	v_subrev_f32_dpp v76, v176, v76 quad_perm:[0,0,0,0] row_mask:0xf bank_mask:0xf// 000000007068: 069898FA FF0000B0
	v_subrev_f32_dpp v77, v176, v77 quad_perm:[1,1,1,1] row_mask:0xf bank_mask:0xf// 000000007070: 069A9AFA FF0055B0
	v_subrev_f32_dpp v78, v176, v78 quad_perm:[2,2,2,2] row_mask:0xf bank_mask:0xf// 000000007078: 069C9CFA FF00AAB0
	v_subrev_f32_dpp v79, v176, v79 quad_perm:[3,3,3,3] row_mask:0xf bank_mask:0xf// 000000007080: 069E9EFA FF00FFB0
	v_subrev_f32_dpp v80, v176, v80 quad_perm:[0,0,0,0] row_mask:0xf bank_mask:0xf// 000000007088: 06A0A0FA FF0000B0
	v_subrev_f32_dpp v81, v176, v81 quad_perm:[1,1,1,1] row_mask:0xf bank_mask:0xf// 000000007090: 06A2A2FA FF0055B0
	v_mfma_f32_16x16x16_bf16 v[182:185], v[126:127], v[164:165], v[182:185]// 000000007098: D3E100B6 06DB497E
	v_subrev_f32_dpp v82, v176, v82 quad_perm:[2,2,2,2] row_mask:0xf bank_mask:0xf// 0000000070A0: 06A4A4FA FF00AAB0
	v_subrev_f32_dpp v83, v176, v83 quad_perm:[3,3,3,3] row_mask:0xf bank_mask:0xf// 0000000070A8: 06A6A6FA FF00FFB0
	v_subrev_f32_dpp v84, v176, v84 quad_perm:[0,0,0,0] row_mask:0xf bank_mask:0xf// 0000000070B0: 06A8A8FA FF0000B0
	v_subrev_f32_dpp v85, v176, v85 quad_perm:[1,1,1,1] row_mask:0xf bank_mask:0xf// 0000000070B8: 06AAAAFA FF0055B0
	v_subrev_f32_dpp v86, v176, v86 quad_perm:[2,2,2,2] row_mask:0xf bank_mask:0xf// 0000000070C0: 06ACACFA FF00AAB0
	v_subrev_f32_dpp v87, v176, v87 quad_perm:[3,3,3,3] row_mask:0xf bank_mask:0xf// 0000000070C8: 06AEAEFA FF00FFB0
	v_mfma_f32_16x16x16_bf16 v[186:189], v[128:129], v[164:165], v[186:189]// 0000000070D0: D3E100BA 06EB4980
	v_mul_f32_e32 v76, v52, v76                                // 0000000070D8: 0A989934
	v_mul_f32_e32 v77, v53, v77                                // 0000000070DC: 0A9A9B35
	v_mul_f32_e32 v78, v54, v78                                // 0000000070E0: 0A9C9D36
	v_mul_f32_e32 v79, v55, v79                                // 0000000070E4: 0A9E9F37
	v_mul_f32_e32 v80, v56, v80                                // 0000000070E8: 0AA0A138
	v_mul_f32_e32 v81, v57, v81                                // 0000000070EC: 0AA2A339
	v_mfma_f32_16x16x16_bf16 v[190:193], v[130:131], v[164:165], v[190:193]// 0000000070F0: D3E100BE 06FB4982
	v_mul_f32_e32 v82, v58, v82                                // 0000000070F8: 0AA4A53A
	v_mul_f32_e32 v83, v59, v83                                // 0000000070FC: 0AA6A73B
	v_mul_f32_e32 v84, v60, v84                                // 000000007100: 0AA8A93C
	v_mul_f32_e32 v85, v61, v85                                // 000000007104: 0AAAAB3D
	v_mul_f32_e32 v86, v62, v86                                // 000000007108: 0AACAD3E
	v_mul_f32_e32 v87, v63, v87                                // 00000000710C: 0AAEAF3F
	v_mfma_f32_16x16x16_bf16 v[194:197], v[124:125], v[166:167], v[194:197]// 000000007110: D3E100C2 070B4D7C
	v_cmp_u_f32_e64 s[74:75], v76, v76                         // 000000007118: D048004A 0002994C
	v_add3_u32 v226, v76, v229, 1                              // 000000007120: D1FF00E2 0207CB4C
	v_cndmask_b32_e64 v32, v226, v228, s[74:75]                // 000000007128: D1000020 012BC9E2
	v_cmp_u_f32_e64 s[74:75], v77, v77                         // 000000007130: D048004A 00029B4D
	v_add3_u32 v226, v77, v229, 1                              // 000000007138: D1FF00E2 0207CB4D
	v_cndmask_b32_e64 v33, v226, v228, s[74:75]                // 000000007140: D1000021 012BC9E2
	v_perm_b32 v76, v33, v32, s64                              // 000000007148: D1ED004C 01024121
	v_cmp_u_f32_e64 s[74:75], v78, v78                         // 000000007150: D048004A 00029D4E
	v_add3_u32 v226, v78, v229, 1                              // 000000007158: D1FF00E2 0207CB4E
	v_cndmask_b32_e64 v32, v226, v228, s[74:75]                // 000000007160: D1000020 012BC9E2
	v_cmp_u_f32_e64 s[74:75], v79, v79                         // 000000007168: D048004A 00029F4F
	v_add3_u32 v226, v79, v229, 1                              // 000000007170: D1FF00E2 0207CB4F
	v_cndmask_b32_e64 v33, v226, v228, s[74:75]                // 000000007178: D1000021 012BC9E2
	v_perm_b32 v77, v33, v32, s64                              // 000000007180: D1ED004D 01024121
	v_cmp_u_f32_e64 s[74:75], v80, v80                         // 000000007188: D048004A 0002A150
	v_add3_u32 v226, v80, v229, 1                              // 000000007190: D1FF00E2 0207CB50
	v_cndmask_b32_e64 v32, v226, v228, s[74:75]                // 000000007198: D1000020 012BC9E2
	v_cmp_u_f32_e64 s[74:75], v81, v81                         // 0000000071A0: D048004A 0002A351
	v_add3_u32 v226, v81, v229, 1                              // 0000000071A8: D1FF00E2 0207CB51
	v_cndmask_b32_e64 v33, v226, v228, s[74:75]                // 0000000071B0: D1000021 012BC9E2
	v_perm_b32 v78, v33, v32, s64                              // 0000000071B8: D1ED004E 01024121
	v_cmp_u_f32_e64 s[74:75], v82, v82                         // 0000000071C0: D048004A 0002A552
	v_add3_u32 v226, v82, v229, 1                              // 0000000071C8: D1FF00E2 0207CB52
	v_cndmask_b32_e64 v32, v226, v228, s[74:75]                // 0000000071D0: D1000020 012BC9E2
	v_cmp_u_f32_e64 s[74:75], v83, v83                         // 0000000071D8: D048004A 0002A753
	v_add3_u32 v226, v83, v229, 1                              // 0000000071E0: D1FF00E2 0207CB53
	v_cndmask_b32_e64 v33, v226, v228, s[74:75]                // 0000000071E8: D1000021 012BC9E2
	v_perm_b32 v79, v33, v32, s64                              // 0000000071F0: D1ED004F 01024121
	v_cmp_u_f32_e64 s[74:75], v84, v84                         // 0000000071F8: D048004A 0002A954
	v_add3_u32 v226, v84, v229, 1                              // 000000007200: D1FF00E2 0207CB54
	v_cndmask_b32_e64 v32, v226, v228, s[74:75]                // 000000007208: D1000020 012BC9E2
	v_cmp_u_f32_e64 s[74:75], v85, v85                         // 000000007210: D048004A 0002AB55
	v_add3_u32 v226, v85, v229, 1                              // 000000007218: D1FF00E2 0207CB55
	v_cndmask_b32_e64 v33, v226, v228, s[74:75]                // 000000007220: D1000021 012BC9E2
	v_perm_b32 v80, v33, v32, s64                              // 000000007228: D1ED0050 01024121
	v_cmp_u_f32_e64 s[74:75], v86, v86                         // 000000007230: D048004A 0002AD56
	v_add3_u32 v226, v86, v229, 1                              // 000000007238: D1FF00E2 0207CB56
	v_cndmask_b32_e64 v32, v226, v228, s[74:75]                // 000000007240: D1000020 012BC9E2
	v_cmp_u_f32_e64 s[74:75], v87, v87                         // 000000007248: D048004A 0002AF57
	v_add3_u32 v226, v87, v229, 1                              // 000000007250: D1FF00E2 0207CB57
	v_cndmask_b32_e64 v33, v226, v228, s[74:75]                // 000000007258: D1000021 012BC9E2
	v_perm_b32 v81, v33, v32, s64                              // 000000007260: D1ED0051 01024121
	v_mfma_f32_16x16x16_bf16 v[198:201], v[126:127], v[166:167], v[198:201]// 000000007268: D3E100C6 071B4D7E
	v_mov_b32_dpp v18, v76 quad_perm:[1,0,3,2] row_mask:0xf bank_mask:0xf// 000000007270: 7E2402FA FF00B14C
	v_perm_b32 v52, v18, v76, v17                              // 000000007278: D1ED0034 04469912
	v_mov_b32_dpp v18, v77 quad_perm:[1,0,3,2] row_mask:0xf bank_mask:0xf// 000000007280: 7E2402FA FF00B14D
	v_perm_b32 v53, v18, v77, v17                              // 000000007288: D1ED0035 04469B12
	v_mov_b32_dpp v18, v78 quad_perm:[1,0,3,2] row_mask:0xf bank_mask:0xf// 000000007290: 7E2402FA FF00B14E
	v_perm_b32 v54, v18, v78, v17                              // 000000007298: D1ED0036 04469D12
	v_mfma_f32_16x16x16_bf16 v[202:205], v[128:129], v[166:167], v[202:205]// 0000000072A0: D3E100CA 072B4D80
	v_mov_b32_dpp v18, v79 quad_perm:[1,0,3,2] row_mask:0xf bank_mask:0xf// 0000000072A8: 7E2402FA FF00B14F
	v_perm_b32 v55, v18, v79, v17                              // 0000000072B0: D1ED0037 04469F12
	v_mov_b32_dpp v18, v80 quad_perm:[1,0,3,2] row_mask:0xf bank_mask:0xf// 0000000072B8: 7E2402FA FF00B150
	v_perm_b32 v56, v18, v80, v17                              // 0000000072C0: D1ED0038 0446A112
	v_mov_b32_dpp v18, v81 quad_perm:[1,0,3,2] row_mask:0xf bank_mask:0xf// 0000000072C8: 7E2402FA FF00B151
	v_perm_b32 v57, v18, v81, v17                              // 0000000072D0: D1ED0039 0446A312
	v_mfma_f32_16x16x16_bf16 v[206:209], v[130:131], v[166:167], v[206:209]// 0000000072D8: D3E100CE 073B4D82
	ds_write_b32 v20, v52 offset:17408                         // 0000000072E0: D81A4400 00003414
	ds_write_b32 v20, v53 offset:17952                         // 0000000072E8: D81A4620 00003514
	v_mfma_f32_16x16x16_bf16 v[210:213], v[124:125], v[168:169], v[210:213]// 0000000072F0: D3E100D2 074B517C
	v_subrev_f32_dpp v88, v177, v88 quad_perm:[0,0,0,0] row_mask:0xf bank_mask:0xf// 0000000072F8: 06B0B0FA FF0000B1
	v_subrev_f32_dpp v89, v177, v89 quad_perm:[1,1,1,1] row_mask:0xf bank_mask:0xf// 000000007300: 06B2B2FA FF0055B1
	v_subrev_f32_dpp v90, v177, v90 quad_perm:[2,2,2,2] row_mask:0xf bank_mask:0xf// 000000007308: 06B4B4FA FF00AAB1
	v_subrev_f32_dpp v91, v177, v91 quad_perm:[3,3,3,3] row_mask:0xf bank_mask:0xf// 000000007310: 06B6B6FA FF00FFB1
	v_subrev_f32_dpp v92, v177, v92 quad_perm:[0,0,0,0] row_mask:0xf bank_mask:0xf// 000000007318: 06B8B8FA FF0000B1
	v_subrev_f32_dpp v93, v177, v93 quad_perm:[1,1,1,1] row_mask:0xf bank_mask:0xf// 000000007320: 06BABAFA FF0055B1
	v_mfma_f32_16x16x16_bf16 v[214:217], v[126:127], v[168:169], v[214:217]// 000000007328: D3E100D6 075B517E
	ds_write_b32 v20, v54 offset:19712                         // 000000007330: D81A4D00 00003614
	ds_write_b32 v20, v55 offset:20256                         // 000000007338: D81A4F20 00003714
	v_mfma_f32_16x16x16_bf16 v[218:221], v[128:129], v[168:169], v[218:221]// 000000007340: D3E100DA 076B5180
	v_subrev_f32_dpp v94, v177, v94 quad_perm:[2,2,2,2] row_mask:0xf bank_mask:0xf// 000000007348: 06BCBCFA FF00AAB1
	v_subrev_f32_dpp v95, v177, v95 quad_perm:[3,3,3,3] row_mask:0xf bank_mask:0xf// 000000007350: 06BEBEFA FF00FFB1
	v_subrev_f32_dpp v96, v177, v96 quad_perm:[0,0,0,0] row_mask:0xf bank_mask:0xf// 000000007358: 06C0C0FA FF0000B1
	v_subrev_f32_dpp v97, v177, v97 quad_perm:[1,1,1,1] row_mask:0xf bank_mask:0xf// 000000007360: 06C2C2FA FF0055B1
	v_subrev_f32_dpp v98, v177, v98 quad_perm:[2,2,2,2] row_mask:0xf bank_mask:0xf// 000000007368: 06C4C4FA FF00AAB1
	v_subrev_f32_dpp v99, v177, v99 quad_perm:[3,3,3,3] row_mask:0xf bank_mask:0xf// 000000007370: 06C6C6FA FF00FFB1
	v_mfma_f32_16x16x16_bf16 v[222:225], v[130:131], v[168:169], v[222:225]// 000000007378: D3E100DE 077B5182
	ds_write_b32 v20, v56 offset:22016                         // 000000007380: D81A5600 00003814
	ds_write_b32 v20, v57 offset:22560                         // 000000007388: D81A5820 00003914
	v_mfma_f32_16x16x16_bf16 v[178:181], v[132:133], v[170:171], v[178:181]// 000000007390: D3E100B2 06CB5584
	v_mul_f32_e32 v88, v64, v88                                // 000000007398: 0AB0B140
	v_mul_f32_e32 v89, v65, v89                                // 00000000739C: 0AB2B341
	v_mul_f32_e32 v90, v66, v90                                // 0000000073A0: 0AB4B542
	v_mul_f32_e32 v91, v67, v91                                // 0000000073A4: 0AB6B743
	v_mul_f32_e32 v92, v68, v92                                // 0000000073A8: 0AB8B944
	v_mul_f32_e32 v93, v69, v93                                // 0000000073AC: 0ABABB45
	v_mfma_f32_16x16x16_bf16 v[182:185], v[134:135], v[170:171], v[182:185]// 0000000073B0: D3E100B6 06DB5586
	v_mul_f32_e32 v94, v70, v94                                // 0000000073B8: 0ABCBD46
	v_mul_f32_e32 v95, v71, v95                                // 0000000073BC: 0ABEBF47
	v_mul_f32_e32 v96, v72, v96                                // 0000000073C0: 0AC0C148
	v_mul_f32_e32 v97, v73, v97                                // 0000000073C4: 0AC2C349
	v_mul_f32_e32 v98, v74, v98                                // 0000000073C8: 0AC4C54A
	v_mul_f32_e32 v99, v75, v99                                // 0000000073CC: 0AC6C74B
	v_mfma_f32_16x16x16_bf16 v[186:189], v[136:137], v[170:171], v[186:189]// 0000000073D0: D3E100BA 06EB5588
	v_cmp_u_f32_e64 s[74:75], v88, v88                         // 0000000073D8: D048004A 0002B158
	v_add3_u32 v226, v88, v229, 1                              // 0000000073E0: D1FF00E2 0207CB58
	v_cndmask_b32_e64 v32, v226, v228, s[74:75]                // 0000000073E8: D1000020 012BC9E2
	v_cmp_u_f32_e64 s[74:75], v89, v89                         // 0000000073F0: D048004A 0002B359
	v_add3_u32 v226, v89, v229, 1                              // 0000000073F8: D1FF00E2 0207CB59
	v_cndmask_b32_e64 v33, v226, v228, s[74:75]                // 000000007400: D1000021 012BC9E2
	v_perm_b32 v82, v33, v32, s64                              // 000000007408: D1ED0052 01024121
	v_cmp_u_f32_e64 s[74:75], v90, v90                         // 000000007410: D048004A 0002B55A
	v_add3_u32 v226, v90, v229, 1                              // 000000007418: D1FF00E2 0207CB5A
	v_cndmask_b32_e64 v32, v226, v228, s[74:75]                // 000000007420: D1000020 012BC9E2
	v_cmp_u_f32_e64 s[74:75], v91, v91                         // 000000007428: D048004A 0002B75B
	v_add3_u32 v226, v91, v229, 1                              // 000000007430: D1FF00E2 0207CB5B
	v_cndmask_b32_e64 v33, v226, v228, s[74:75]                // 000000007438: D1000021 012BC9E2
	v_perm_b32 v83, v33, v32, s64                              // 000000007440: D1ED0053 01024121
	v_cmp_u_f32_e64 s[74:75], v92, v92                         // 000000007448: D048004A 0002B95C
	v_add3_u32 v226, v92, v229, 1                              // 000000007450: D1FF00E2 0207CB5C
	v_cndmask_b32_e64 v32, v226, v228, s[74:75]                // 000000007458: D1000020 012BC9E2
	v_cmp_u_f32_e64 s[74:75], v93, v93                         // 000000007460: D048004A 0002BB5D
	v_add3_u32 v226, v93, v229, 1                              // 000000007468: D1FF00E2 0207CB5D
	v_cndmask_b32_e64 v33, v226, v228, s[74:75]                // 000000007470: D1000021 012BC9E2
	v_perm_b32 v84, v33, v32, s64                              // 000000007478: D1ED0054 01024121
	v_cmp_u_f32_e64 s[74:75], v94, v94                         // 000000007480: D048004A 0002BD5E
	v_add3_u32 v226, v94, v229, 1                              // 000000007488: D1FF00E2 0207CB5E
	v_cndmask_b32_e64 v32, v226, v228, s[74:75]                // 000000007490: D1000020 012BC9E2
	v_cmp_u_f32_e64 s[74:75], v95, v95                         // 000000007498: D048004A 0002BF5F
	v_add3_u32 v226, v95, v229, 1                              // 0000000074A0: D1FF00E2 0207CB5F
	v_cndmask_b32_e64 v33, v226, v228, s[74:75]                // 0000000074A8: D1000021 012BC9E2
	v_perm_b32 v85, v33, v32, s64                              // 0000000074B0: D1ED0055 01024121
	v_cmp_u_f32_e64 s[74:75], v96, v96                         // 0000000074B8: D048004A 0002C160
	v_add3_u32 v226, v96, v229, 1                              // 0000000074C0: D1FF00E2 0207CB60
	v_cndmask_b32_e64 v32, v226, v228, s[74:75]                // 0000000074C8: D1000020 012BC9E2
	v_cmp_u_f32_e64 s[74:75], v97, v97                         // 0000000074D0: D048004A 0002C361
	v_add3_u32 v226, v97, v229, 1                              // 0000000074D8: D1FF00E2 0207CB61
	v_cndmask_b32_e64 v33, v226, v228, s[74:75]                // 0000000074E0: D1000021 012BC9E2
	v_perm_b32 v86, v33, v32, s64                              // 0000000074E8: D1ED0056 01024121
	v_cmp_u_f32_e64 s[74:75], v98, v98                         // 0000000074F0: D048004A 0002C562
	v_add3_u32 v226, v98, v229, 1                              // 0000000074F8: D1FF00E2 0207CB62
	v_cndmask_b32_e64 v32, v226, v228, s[74:75]                // 000000007500: D1000020 012BC9E2
	v_cmp_u_f32_e64 s[74:75], v99, v99                         // 000000007508: D048004A 0002C763
	v_add3_u32 v226, v99, v229, 1                              // 000000007510: D1FF00E2 0207CB63
	v_cndmask_b32_e64 v33, v226, v228, s[74:75]                // 000000007518: D1000021 012BC9E2
	v_perm_b32 v87, v33, v32, s64                              // 000000007520: D1ED0057 01024121
	v_mfma_f32_16x16x16_bf16 v[190:193], v[138:139], v[170:171], v[190:193]// 000000007528: D3E100BE 06FB558A
	v_mov_b32_dpp v18, v82 quad_perm:[1,0,3,2] row_mask:0xf bank_mask:0xf// 000000007530: 7E2402FA FF00B152
	v_perm_b32 v58, v18, v82, v17                              // 000000007538: D1ED003A 0446A512
	v_mov_b32_dpp v18, v83 quad_perm:[1,0,3,2] row_mask:0xf bank_mask:0xf// 000000007540: 7E2402FA FF00B153
	v_perm_b32 v59, v18, v83, v17                              // 000000007548: D1ED003B 0446A712
	v_mov_b32_dpp v18, v84 quad_perm:[1,0,3,2] row_mask:0xf bank_mask:0xf// 000000007550: 7E2402FA FF00B154
	v_perm_b32 v60, v18, v84, v17                              // 000000007558: D1ED003C 0446A912
	v_mfma_f32_16x16x16_bf16 v[194:197], v[132:133], v[172:173], v[194:197]// 000000007560: D3E100C2 070B5984
	v_mov_b32_dpp v18, v85 quad_perm:[1,0,3,2] row_mask:0xf bank_mask:0xf// 000000007568: 7E2402FA FF00B155
	v_perm_b32 v61, v18, v85, v17                              // 000000007570: D1ED003D 0446AB12
	v_mov_b32_dpp v18, v86 quad_perm:[1,0,3,2] row_mask:0xf bank_mask:0xf// 000000007578: 7E2402FA FF00B156
	v_perm_b32 v62, v18, v86, v17                              // 000000007580: D1ED003E 0446AD12
	v_mov_b32_dpp v18, v87 quad_perm:[1,0,3,2] row_mask:0xf bank_mask:0xf// 000000007588: 7E2402FA FF00B157
	v_perm_b32 v63, v18, v87, v17                              // 000000007590: D1ED003F 0446AF12
	v_mfma_f32_16x16x16_bf16 v[198:201], v[134:135], v[172:173], v[198:201]// 000000007598: D3E100C6 071B5986
	ds_write_b32 v20, v58 offset:24320                         // 0000000075A0: D81A5F00 00003A14
	ds_write_b32 v20, v59 offset:24864                         // 0000000075A8: D81A6120 00003B14
	v_mfma_f32_16x16x16_bf16 v[202:205], v[136:137], v[172:173], v[202:205]// 0000000075B0: D3E100CA 072B5988
	v_mfma_f32_16x16x16_bf16 v[206:209], v[138:139], v[172:173], v[206:209]// 0000000075B8: D3E100CE 073B598A
	ds_write_b32 v20, v60 offset:26624                         // 0000000075C0: D81A6800 00003C14
	ds_write_b32 v20, v61 offset:27168                         // 0000000075C8: D81A6A20 00003D14
	ds_write_b32 v20, v62 offset:28928                         // 0000000075D0: D81A7100 00003E14
	ds_write_b32 v20, v63 offset:29472                         // 0000000075D8: D81A7320 00003F14
	v_mfma_f32_16x16x16_bf16 v[210:213], v[132:133], v[174:175], v[210:213]// 0000000075E0: D3E100D2 074B5D84
	v_mfma_f32_16x16x16_bf16 v[214:217], v[134:135], v[174:175], v[214:217]// 0000000075E8: D3E100D6 075B5D86
	ds_write_b32 v15, v100 offset:4352                         // 0000000075F0: D81A1100 0000640F
	ds_write_b32 v15, v101 offset:5408                         // 0000000075F8: D81A1520 0000650F
	v_mfma_f32_16x16x16_bf16 v[218:221], v[136:137], v[174:175], v[218:221]// 000000007600: D3E100DA 076B5D88
	s_nop 0                                                    // 000000007608: BF800000
	s_nop 0                                                    // 00000000760C: BF800000
	s_nop 0                                                    // 000000007610: BF800000
	v_mfma_f32_16x16x16_bf16 v[222:225], v[138:139], v[174:175], v[222:225]// 000000007614: D3E100DE 077B5D8A
	ds_write_b32 v15, v102 offset:6528                         // 00000000761C: D81A1980 0000660F
	ds_write_b32 v15, v103 offset:7584                         // 000000007624: D81A1DA0 0000670F
	s_barrier                                                  // 00000000762C: BF8A0000
	v_mfma_f32_16x16x16_bf16 a[112:115], a[96:97], v[76:77], a[112:115]// 000000007630: D3E18070 0DC29960
	buffer_atomic_add_f32 v156, v6, s[32:35], 0 idxen          // 000000007638: E1342000 80089C06
	v_mfma_f32_16x16x16_bf16 a[116:119], a[98:99], v[76:77], a[116:119]// 000000007640: D3E18074 0DD29962
	ds_read_b32 v140, v23 offset:39424                         // 000000007648: D86C9A00 8C000017
	ds_read_b32 v144, v23 offset:39488                         // 000000007650: D86C9A40 90000017
	ds_read_b32 v176, v23 offset:39680                         // 000000007658: D86C9B00 B0000017
	ds_read_b32 v177, v23 offset:39744                         // 000000007660: D86C9B40 B1000017
	v_mfma_f32_16x16x16_bf16 a[120:123], a[100:101], v[76:77], a[120:123]// 000000007668: D3E18078 0DE29964
	s_waitcnt lgkmcnt(8)                                       // 000000007670: BF8CC87F
	s_barrier                                                  // 000000007674: BF8A0000
	v_mfma_f32_16x16x16_bf16 a[124:127], a[102:103], v[76:77], a[124:127]// 000000007678: D3E1807C 0DF29966
	ds_read_b128 v[52:55], v19 offset:17408                    // 000000007680: D9FE4400 34000013
	v_mfma_f32_16x16x16_bf16 a[128:131], a[96:97], v[78:79], a[128:131]// 000000007688: D3E18080 0E029D60
	v_mfma_f32_16x16x16_bf16 a[132:135], a[98:99], v[78:79], a[132:135]// 000000007690: D3E18084 0E129D62
	ds_read_b128 v[56:59], v19 offset:18560                    // 000000007698: D9FE4880 38000013
	v_mfma_f32_16x16x16_bf16 a[136:139], a[100:101], v[78:79], a[136:139]// 0000000076A0: D3E18088 0E229D64
	buffer_atomic_add_f32 v157, v7, s[32:35], 0 idxen          // 0000000076A8: E1342000 80089D07
	v_mfma_f32_16x16x16_bf16 a[140:143], a[102:103], v[78:79], a[140:143]// 0000000076B0: D3E1808C 0E329D66
	ds_read_b128 v[60:63], v19 offset:19712                    // 0000000076B8: D9FE4D00 3C000013
	v_mfma_f32_16x16x16_bf16 a[144:147], a[96:97], v[80:81], a[144:147]// 0000000076C0: D3E18090 0E42A160
	v_mfma_f32_16x16x16_bf16 a[148:151], a[98:99], v[80:81], a[148:151]// 0000000076C8: D3E18094 0E52A162
	ds_read_b128 v[64:67], v19 offset:20864                    // 0000000076D0: D9FE5180 40000013
	v_mfma_f32_16x16x16_bf16 a[152:155], a[100:101], v[80:81], a[152:155]// 0000000076D8: D3E18098 0E62A164
	v_mfma_f32_16x16x16_bf16 a[156:159], a[102:103], v[80:81], a[156:159]// 0000000076E0: D3E1809C 0E72A166
	ds_read_b128 v[68:71], v19 offset:22016                    // 0000000076E8: D9FE5600 44000013
	v_mfma_f32_16x16x16_bf16 a[112:115], a[104:105], v[82:83], a[112:115]// 0000000076F0: D3E18070 0DC2A568
	buffer_atomic_add_f32 v158, v6, s[32:35], 0 idxen offset:128// 0000000076F8: E1342080 80089E06
	v_mfma_f32_16x16x16_bf16 a[116:119], a[106:107], v[82:83], a[116:119]// 000000007700: D3E18074 0DD2A56A
	ds_read_b128 v[72:75], v19 offset:23168                    // 000000007708: D9FE5A80 48000013
	v_mfma_f32_16x16x16_bf16 a[120:123], a[108:109], v[82:83], a[120:123]// 000000007710: D3E18078 0DE2A56C
	v_mfma_f32_16x16x16_bf16 a[124:127], a[110:111], v[82:83], a[124:127]// 000000007718: D3E1807C 0DF2A56E
	ds_write_b32 v15, v104 offset:13056                        // 000000007720: D81A3300 0000680F
	v_mfma_f32_16x16x16_bf16 a[128:131], a[104:105], v[84:85], a[128:131]// 000000007728: D3E18080 0E02A968
	v_mfma_f32_16x16x16_bf16 a[132:135], a[106:107], v[84:85], a[132:135]// 000000007730: D3E18084 0E12A96A
	ds_write_b32 v15, v105 offset:14112                        // 000000007738: D81A3720 0000690F
	v_mfma_f32_16x16x16_bf16 a[136:139], a[108:109], v[84:85], a[136:139]// 000000007740: D3E18088 0E22A96C
	buffer_atomic_add_f32 v159, v7, s[32:35], 0 idxen offset:128// 000000007748: E1342080 80089F07
	v_mfma_f32_16x16x16_bf16 a[140:143], a[110:111], v[84:85], a[140:143]// 000000007750: D3E1808C 0E32A96E
	ds_write_b32 v15, v106 offset:15232                        // 000000007758: D81A3B80 00006A0F
	v_mfma_f32_16x16x16_bf16 a[144:147], a[104:105], v[86:87], a[144:147]// 000000007760: D3E18090 0E42AD68
	v_mfma_f32_16x16x16_bf16 a[148:151], a[106:107], v[86:87], a[148:151]// 000000007768: D3E18094 0E52AD6A
	ds_write_b32 v15, v107 offset:16288                        // 000000007770: D81A3FA0 00006B0F
	v_mfma_f32_16x16x16_bf16 a[152:155], a[108:109], v[86:87], a[152:155]// 000000007778: D3E18098 0E62AD6C
	v_mfma_f32_16x16x16_bf16 a[156:159], a[110:111], v[86:87], a[156:159]// 000000007780: D3E1809C 0E72AD6E
	s_waitcnt vmcnt(8) lgkmcnt(4)                              // 000000007788: BF8C0478
	s_barrier                                                  // 00000000778C: BF8A0000
	v_mfma_f32_16x16x16_bf16 v[148:151], v[52:53], a[24:25], 0 // 000000007790: D3E10094 12023134
	v_mul_f32_e32 v140, s48, v140                              // 000000007798: 0B191830
	v_mul_f32_e32 v144, s48, v144                              // 00000000779C: 0B212030
	s_nop 0                                                    // 0000000077A0: BF800000
	v_mfma_f32_16x16x16_bf16 v[148:151], v[54:55], a[28:29], v[148:151]// 0000000077A4: D3E10094 16523936
	ds_read_b128 a[96:99], v12                                 // 0000000077AC: DBFE0000 6000000C
	buffer_load_dword v36, v1, s[8:11], 0 idxen                // 0000000077B4: E0502000 80022401
	v_mfma_f32_16x16x16_bf16 v[148:151], v[56:57], a[32:33], v[148:151]// 0000000077BC: D3E10094 16524138
	v_mfma_f32_16x16x16_bf16 v[148:151], v[58:59], a[36:37], v[148:151]// 0000000077C4: D3E10094 1652493A
	ds_read_b128 a[100:103], v12 offset:512                    // 0000000077CC: DBFE0200 6400000C
	buffer_load_dword v37, v2, s[8:11], 0 idxen                // 0000000077D4: E0502000 80022502
	v_mfma_f32_16x16x16_bf16 v[148:151], v[60:61], a[40:41], v[148:151]// 0000000077DC: D3E10094 1652513C
	v_perm_b32 v100, v41, v40, s63                             // 0000000077E4: D1ED0064 00FE5129
	v_perm_b32 v101, v41, v40, s64                             // 0000000077EC: D1ED0065 01025129
	v_mfma_f32_16x16x16_bf16 v[148:151], v[62:63], a[44:45], v[148:151]// 0000000077F4: D3E10094 1652593E
	ds_read_b128 a[104:107], v12 offset:2176                   // 0000000077FC: DBFE0880 6800000C
	buffer_load_dword v38, v3, s[8:11], 0 idxen                // 000000007804: E0502000 80022603
	v_mfma_f32_16x16x16_bf16 v[148:151], v[64:65], a[48:49], v[148:151]// 00000000780C: D3E10094 16526140
	v_perm_b32 v102, v43, v42, s63                             // 000000007814: D1ED0066 00FE552B
	v_perm_b32 v103, v43, v42, s64                             // 00000000781C: D1ED0067 0102552B
	v_mfma_f32_16x16x16_bf16 v[148:151], v[66:67], a[52:53], v[148:151]// 000000007824: D3E10094 16526942
	ds_read_b128 a[108:111], v12 offset:2688                   // 00000000782C: DBFE0A80 6C00000C
	buffer_load_dword v39, v4, s[8:11], 0 idxen                // 000000007834: E0502000 80022704
	v_mfma_f32_16x16x16_bf16 v[148:151], v[68:69], a[56:57], v[148:151]// 00000000783C: D3E10094 16527144
	v_perm_b32 v104, v49, v48, s63                             // 000000007844: D1ED0068 00FE6131
	v_perm_b32 v105, v49, v48, s64                             // 00000000784C: D1ED0069 01026131
	v_mfma_f32_16x16x16_bf16 v[148:151], v[70:71], a[60:61], v[148:151]// 000000007854: D3E10094 16527946
	ds_read_b128 v[108:111], v12 offset:8704                   // 00000000785C: D9FE2200 6C00000C
	buffer_load_dword v44, v231, s[20:23], 0 idxen             // 000000007864: E0502000 80052CE7
	v_mfma_f32_16x16x16_bf16 v[148:151], v[72:73], a[64:65], v[148:151]// 00000000786C: D3E10094 16528148
	v_perm_b32 v106, v51, v50, s63                             // 000000007874: D1ED006A 00FE6533
	v_perm_b32 v107, v51, v50, s64                             // 00000000787C: D1ED006B 01026533
	v_mfma_f32_16x16x16_bf16 v[148:151], v[74:75], a[68:69], v[148:151]// 000000007884: D3E10094 1652894A
	ds_read_b128 v[112:115], v12 offset:9216                   // 00000000788C: D9FE2400 7000000C
	buffer_load_dword v45, v232, s[20:23], 0 idxen             // 000000007894: E0502000 80052DE8
	v_mfma_f32_16x16x16_bf16 v[152:155], v[52:53], a[26:27], 0 // 00000000789C: D3E10098 12023534
	v_mov_b32_dpp v143, v140 quad_perm:[3,3,3,3] row_mask:0xf bank_mask:0xf// 0000000078A4: 7F1E02FA FF00FF8C
	v_mov_b32_dpp v142, v140 quad_perm:[2,2,2,2] row_mask:0xf bank_mask:0xf// 0000000078AC: 7F1C02FA FF00AA8C
	v_mov_b32_dpp v141, v140 quad_perm:[1,1,1,1] row_mask:0xf bank_mask:0xf// 0000000078B4: 7F1A02FA FF00558C
	v_mov_b32_dpp v140, v140 quad_perm:[0,0,0,0] row_mask:0xf bank_mask:0xf// 0000000078BC: 7F1802FA FF00008C
	v_mfma_f32_16x16x16_bf16 v[152:155], v[54:55], a[30:31], v[152:155]// 0000000078C4: D3E10098 16623D36
	ds_read_b128 v[116:119], v12 offset:10880                  // 0000000078CC: D9FE2A80 7400000C
	buffer_load_dword v46, v233, s[20:23], 0 idxen             // 0000000078D4: E0502000 80052EE9
	v_mfma_f32_16x16x16_bf16 v[152:155], v[56:57], a[34:35], v[152:155]// 0000000078DC: D3E10098 16624538
	v_mov_b32_dpp v147, v144 quad_perm:[3,3,3,3] row_mask:0xf bank_mask:0xf// 0000000078E4: 7F2602FA FF00FF90
	v_mov_b32_dpp v146, v144 quad_perm:[2,2,2,2] row_mask:0xf bank_mask:0xf// 0000000078EC: 7F2402FA FF00AA90
	v_mov_b32_dpp v145, v144 quad_perm:[1,1,1,1] row_mask:0xf bank_mask:0xf// 0000000078F4: 7F2202FA FF005590
	v_mov_b32_dpp v144, v144 quad_perm:[0,0,0,0] row_mask:0xf bank_mask:0xf// 0000000078FC: 7F2002FA FF000090
	s_add_u32 s60, 0x80, s59                                   // 000000007904: 803C3BFF 00000080
	v_mfma_f32_16x16x16_bf16 v[152:155], v[58:59], a[38:39], v[152:155]// 00000000790C: D3E10098 16624D3A
	ds_read_b128 v[120:123], v12 offset:11392                  // 000000007914: D9FE2C80 7800000C
	buffer_load_dword v47, v234, s[20:23], 0 idxen             // 00000000791C: E0502000 80052FEA
	v_mfma_f32_16x16x16_bf16 v[152:155], v[60:61], a[42:43], v[152:155]// 000000007924: D3E10098 1662553C
	s_cmp_lt_u32 s60, s58                                      // 00000000792C: BF0A3A3C
	s_cselect_b32 s68, s68, 0                                  // 000000007930: 85448044
	s_cselect_b32 s81, s81, 0                                  // 000000007934: 85518051
	;; [unrolled: 1-line block ×3, first 2 shown]
	v_mfma_f32_16x16x16_bf16 v[152:155], v[62:63], a[46:47], v[152:155]// 00000000793C: D3E10098 16625D3E
	buffer_load_dword v11, s[24:27], 0 idxen lds               // 000000007944: E0512000 8006000B
	v_mfma_f32_16x16x16_bf16 v[152:155], v[64:65], a[50:51], v[152:155]// 00000000794C: D3E10098 16626540
	v_add_u32_e32 v1, s68, v1                                  // 000000007954: 68020244
	v_add_u32_e32 v2, s68, v2                                  // 000000007958: 68040444
	v_add_u32_e32 v3, s68, v3                                  // 00000000795C: 68060644
	v_add_u32_e32 v4, s68, v4                                  // 000000007960: 68080844
	v_mfma_f32_16x16x16_bf16 v[152:155], v[66:67], a[54:55], v[152:155]// 000000007964: D3E10098 16626D42
	v_add_u32_e32 v231, s81, v231                              // 00000000796C: 69CFCE51
	v_add_u32_e32 v232, s81, v232                              // 000000007970: 69D1D051
	v_add_u32_e32 v233, s81, v233                              // 000000007974: 69D3D251
	v_add_u32_e32 v234, s81, v234                              // 000000007978: 69D5D451
	v_mfma_f32_16x16x16_bf16 v[152:155], v[68:69], a[58:59], v[152:155]// 00000000797C: D3E10098 16627544
	s_mov_b32 m0, s77                                          // 000000007984: BEFC004D
	v_add_u32_e32 v11, s69, v11                                // 000000007988: 68161645
	v_mfma_f32_16x16x16_bf16 v[152:155], v[70:71], a[62:63], v[152:155]// 00000000798C: D3E10098 16627D46
	s_cmp_ge_u32 s59, 32                                       // 000000007994: BF09A03B
	s_cselect_b32 s66, s67, s66                                // 000000007998: 85424243
	v_mfma_f32_16x16x16_bf16 v[152:155], v[72:73], a[66:67], v[152:155]// 00000000799C: D3E10098 16628548
	s_addk_i32 s59, 0x20                                       // 0000000079A4: B73B0020
	s_nop 0                                                    // 0000000079A8: BF800000
	s_cmp_lt_i32 s59, s58                                      // 0000000079AC: BF043A3B
	v_mfma_f32_16x16x16_bf16 v[152:155], v[74:75], a[70:71], v[152:155]// 0000000079B0: D3E10098 16628D4A
	s_cbranch_scc0 label_0F02                                  // 0000000079B8: BF840001
	s_branch label_062D                                        // 0000000079BC: BF82F73D

00000000000079c0 <label_0F02>:
	s_nop 0                                                    // 0000000079C0: BF800000
	s_nop 0                                                    // 0000000079C4: BF800000
	s_branch label_17DA                                        // 0000000079C8: BF8208C3

00000000000079cc <label_0F05>:
	s_waitcnt lgkmcnt(4)                                       // 0000000079CC: BF8CC47F
	s_barrier                                                  // 0000000079D0: BF8A0000
	v_mfma_f32_16x16x16_bf16 v[52:55], a[96:97], a[0:1], 0     // 0000000079D4: D3E10034 1A020160
	v_mul_f32_e32 v148, s47, v148                              // 0000000079DC: 0B29282F
	v_mul_f32_e32 v149, s47, v149                              // 0000000079E0: 0B2B2A2F
	v_mfma_f32_16x16x16_bf16 v[52:55], a[98:99], a[2:3], v[52:55]// 0000000079E4: D3E10034 1CD20562
	ds_write_b32 v13, v48 offset:8704                          // 0000000079EC: D81A2200 0000300D
	ds_write_b32 v13, v49 offset:9760                          // 0000000079F4: D81A2620 0000310D
	v_mfma_f32_16x16x16_bf16 v[52:55], a[100:101], a[4:5], v[52:55]// 0000000079FC: D3E10034 1CD20964
	v_mul_f32_e32 v150, s47, v150                              // 000000007A04: 0B2D2C2F
	v_mul_f32_e32 v151, s47, v151                              // 000000007A08: 0B2F2E2F
	v_mfma_f32_16x16x16_bf16 v[52:55], a[102:103], a[6:7], v[52:55]// 000000007A0C: D3E10034 1CD20D66
	ds_write_b32 v13, v50 offset:10880                         // 000000007A14: D81A2A80 0000320D
	ds_write_b32 v13, v51 offset:11936                         // 000000007A1C: D81A2EA0 0000330D
	v_mfma_f32_16x16x16_bf16 v[56:59], a[96:97], a[8:9], 0     // 000000007A24: D3E10038 1A021160
	v_mul_f32_e32 v152, s47, v152                              // 000000007A2C: 0B31302F
	v_mul_f32_e32 v153, s47, v153                              // 000000007A30: 0B33322F
	v_mfma_f32_16x16x16_bf16 v[56:59], a[98:99], a[10:11], v[56:59]// 000000007A34: D3E10038 1CE21562
	ds_write_b64 v22, v[148:149] offset:31232                  // 000000007A3C: D89A7A00 00009416
	v_mfma_f32_16x16x16_bf16 v[56:59], a[100:101], a[12:13], v[56:59]// 000000007A44: D3E10038 1CE21964
	v_mul_f32_e32 v154, s47, v154                              // 000000007A4C: 0B35342F
	v_mul_f32_e32 v155, s47, v155                              // 000000007A50: 0B37362F
	v_mfma_f32_16x16x16_bf16 v[56:59], a[102:103], a[14:15], v[56:59]// 000000007A54: D3E10038 1CE21D66
	ds_write_b64 v22, v[150:151] offset:31744                  // 000000007A5C: D89A7C00 00009616
	v_mfma_f32_16x16x16_bf16 v[60:63], a[96:97], a[16:17], 0   // 000000007A64: D3E1003C 1A022160
	buffer_atomic_add_f32 v160, v8, s[32:35], 0 idxen          // 000000007A6C: E1342000 8008A008
	v_mfma_f32_16x16x16_bf16 v[60:63], a[98:99], a[18:19], v[60:63]// 000000007A74: D3E1003C 1CF22562
	ds_write_b64 v22, v[152:153] offset:32256                  // 000000007A7C: D89A7E00 00009816
	v_mfma_f32_16x16x16_bf16 v[60:63], a[100:101], a[20:21], v[60:63]// 000000007A84: D3E1003C 1CF22964
	v_mfma_f32_16x16x16_bf16 v[60:63], a[102:103], a[22:23], v[60:63]// 000000007A8C: D3E1003C 1CF22D66
	ds_write_b64 v22, v[154:155] offset:32768                  // 000000007A94: D89A8000 00009A16
	v_mfma_f32_16x16x16_bf16 v[64:67], a[104:105], a[0:1], 0   // 000000007A9C: D3E10040 1A020168
	buffer_atomic_add_f32 v161, v9, s[32:35], 0 idxen          // 000000007AA4: E1342000 8008A109
	v_mfma_f32_16x16x16_bf16 v[64:67], a[106:107], a[2:3], v[64:67]// 000000007AAC: D3E10040 1D02056A
	ds_read_b128 v[124:127], v14 offset:13056                  // 000000007AB4: D9FE3300 7C00000E
	ds_write_b32 v13, v40                                      // 000000007ABC: D81A0000 0000280D
	v_mfma_f32_16x16x16_bf16 v[64:67], a[108:109], a[4:5], v[64:67]// 000000007AC4: D3E10040 1D02096C
	v_mfma_f32_16x16x16_bf16 v[64:67], a[110:111], a[6:7], v[64:67]// 000000007ACC: D3E10040 1D020D6E
	v_mfma_f32_16x16x16_bf16 v[68:71], a[104:105], a[8:9], 0   // 000000007AD4: D3E10044 1A021168
	ds_read_b128 v[128:131], v14 offset:13568                  // 000000007ADC: D9FE3500 8000000E
	ds_write_b32 v13, v41 offset:1056                          // 000000007AE4: D81A0420 0000290D
	v_mfma_f32_16x16x16_bf16 v[68:71], a[106:107], a[10:11], v[68:71]// 000000007AEC: D3E10044 1D12156A
	buffer_atomic_add_f32 v162, v8, s[32:35], 0 idxen offset:128// 000000007AF4: E1342080 8008A208
	v_mfma_f32_16x16x16_bf16 v[68:71], a[108:109], a[12:13], v[68:71]// 000000007AFC: D3E10044 1D12196C
	v_mfma_f32_16x16x16_bf16 v[68:71], a[110:111], a[14:15], v[68:71]// 000000007B04: D3E10044 1D121D6E
	ds_read_b128 v[132:135], v14 offset:15232                  // 000000007B0C: D9FE3B80 8400000E
	ds_write_b32 v13, v42 offset:2176                          // 000000007B14: D81A0880 00002A0D
	v_mfma_f32_16x16x16_bf16 v[72:75], a[104:105], a[16:17], 0 // 000000007B1C: D3E10048 1A022168
	v_mfma_f32_16x16x16_bf16 v[72:75], a[106:107], a[18:19], v[72:75]// 000000007B24: D3E10048 1D22256A
	buffer_atomic_add_f32 v163, v9, s[32:35], 0 idxen offset:128// 000000007B2C: E1342080 8008A309
	v_mfma_f32_16x16x16_bf16 v[72:75], a[108:109], a[20:21], v[72:75]// 000000007B34: D3E10048 1D22296C
	ds_read_b128 v[136:139], v14 offset:15744                  // 000000007B3C: D9FE3D80 8800000E
	ds_write_b32 v13, v43 offset:3232                          // 000000007B44: D81A0CA0 00002B0D
	v_mfma_f32_16x16x16_bf16 v[72:75], a[110:111], a[22:23], v[72:75]// 000000007B4C: D3E10048 1D222D6E
	s_cmp_lt_i32 s83, 0xc0                                     // 000000007B54: BF04FF53 000000C0
	s_cbranch_scc0 label_0FE0                                  // 000000007B5C: BF84006D
	s_cmp_le_i32 s83, 64                                       // 000000007B60: BF05C053
	s_cbranch_scc1 label_0F73                                  // 000000007B64: BF850007
	s_cmp_le_i32 s83, 0x80                                     // 000000007B68: BF05FF53 00000080
	s_cbranch_scc1 label_0F97                                  // 000000007B70: BF85001F
	s_cmp_lt_i32 s83, 0xc0                                     // 000000007B74: BF04FF53 000000C0
	s_cbranch_scc1 label_0FBB                                  // 000000007B7C: BF850040
	s_branch label_0FE0                                        // 000000007B80: BF820064

0000000000007b84 <label_0F73>:
	s_mov_b32 s60, 0                                           // 000000007B84: BEBC0080
	v_and_b32_e32 v32, 15, v0                                  // 000000007B88: 2640008F
	v_add_u32_e64 v32, v32, s60                                // 000000007B8C: D1340020 00007920
	v_mul_i32_i24_e64 v33, s46, 16                             // 000000007B94: D1060021 0001202E
	v_add_u32_e32 v32, v32, v33                                // 000000007B9C: 68404320
	v_cmp_lt_u32_e64 s[60:61], v32, s83                        // 000000007BA0: D0C9003C 0000A720
	s_nop 1                                                    // 000000007BA8: BF800001
	v_cndmask_b32_e64 v52, v230, v52, s[60:61]                 // 000000007BAC: D1000034 00F269E6
	v_cndmask_b32_e64 v64, v230, v64, s[60:61]                 // 000000007BB4: D1000040 00F281E6
	v_cndmask_b32_e64 v53, v230, v53, s[60:61]                 // 000000007BBC: D1000035 00F26BE6
	v_cndmask_b32_e64 v65, v230, v65, s[60:61]                 // 000000007BC4: D1000041 00F283E6
	v_cndmask_b32_e64 v54, v230, v54, s[60:61]                 // 000000007BCC: D1000036 00F26DE6
	v_cndmask_b32_e64 v66, v230, v66, s[60:61]                 // 000000007BD4: D1000042 00F285E6
	v_cndmask_b32_e64 v55, v230, v55, s[60:61]                 // 000000007BDC: D1000037 00F26FE6
	v_cndmask_b32_e64 v67, v230, v67, s[60:61]                 // 000000007BE4: D1000043 00F287E6
	s_branch label_0FB2                                        // 000000007BEC: BF82001B

0000000000007bf0 <label_0F97>:
	s_mov_b32 s60, 64                                          // 000000007BF0: BEBC00C0
	v_and_b32_e32 v32, 15, v0                                  // 000000007BF4: 2640008F
	v_add_u32_e64 v32, v32, s60                                // 000000007BF8: D1340020 00007920
	v_mul_i32_i24_e64 v33, s46, 16                             // 000000007C00: D1060021 0001202E
	v_add_u32_e32 v32, v32, v33                                // 000000007C08: 68404320
	v_cmp_lt_u32_e64 s[60:61], v32, s83                        // 000000007C0C: D0C9003C 0000A720
	s_nop 1                                                    // 000000007C14: BF800001
	v_cndmask_b32_e64 v56, v230, v56, s[60:61]                 // 000000007C18: D1000038 00F271E6
	v_cndmask_b32_e64 v68, v230, v68, s[60:61]                 // 000000007C20: D1000044 00F289E6
	v_cndmask_b32_e64 v57, v230, v57, s[60:61]                 // 000000007C28: D1000039 00F273E6
	v_cndmask_b32_e64 v69, v230, v69, s[60:61]                 // 000000007C30: D1000045 00F28BE6
	v_cndmask_b32_e64 v58, v230, v58, s[60:61]                 // 000000007C38: D100003A 00F275E6
	v_cndmask_b32_e64 v70, v230, v70, s[60:61]                 // 000000007C40: D1000046 00F28DE6
	v_cndmask_b32_e64 v59, v230, v59, s[60:61]                 // 000000007C48: D100003B 00F277E6
	v_cndmask_b32_e64 v71, v230, v71, s[60:61]                 // 000000007C50: D1000047 00F28FE6
	s_branch label_0FD7                                        // 000000007C58: BF820025

0000000000007c5c <label_0FB2>:
	v_mov_b32_e32 v56, v230                                    // 000000007C5C: 7E7003E6
	v_mov_b32_e32 v68, v230                                    // 000000007C60: 7E8803E6
	v_mov_b32_e32 v57, v230                                    // 000000007C64: 7E7203E6
	v_mov_b32_e32 v69, v230                                    // 000000007C68: 7E8A03E6
	v_mov_b32_e32 v58, v230                                    // 000000007C6C: 7E7403E6
	v_mov_b32_e32 v70, v230                                    // 000000007C70: 7E8C03E6
	v_mov_b32_e32 v59, v230                                    // 000000007C74: 7E7603E6
	v_mov_b32_e32 v71, v230                                    // 000000007C78: 7E8E03E6
	s_branch label_0FD7                                        // 000000007C7C: BF82001C

0000000000007c80 <label_0FBB>:
	s_mov_b32 s60, 0x80                                        // 000000007C80: BEBC00FF 00000080
	v_and_b32_e32 v32, 15, v0                                  // 000000007C88: 2640008F
	v_add_u32_e64 v32, v32, s60                                // 000000007C8C: D1340020 00007920
	v_mul_i32_i24_e64 v33, s46, 16                             // 000000007C94: D1060021 0001202E
	v_add_u32_e32 v32, v32, v33                                // 000000007C9C: 68404320
	v_cmp_lt_u32_e64 s[60:61], v32, s83                        // 000000007CA0: D0C9003C 0000A720
	s_nop 1                                                    // 000000007CA8: BF800001
	v_cndmask_b32_e64 v60, v230, v60, s[60:61]                 // 000000007CAC: D100003C 00F279E6
	v_cndmask_b32_e64 v72, v230, v72, s[60:61]                 // 000000007CB4: D1000048 00F291E6
	v_cndmask_b32_e64 v61, v230, v61, s[60:61]                 // 000000007CBC: D100003D 00F27BE6
	v_cndmask_b32_e64 v73, v230, v73, s[60:61]                 // 000000007CC4: D1000049 00F293E6
	v_cndmask_b32_e64 v62, v230, v62, s[60:61]                 // 000000007CCC: D100003E 00F27DE6
	v_cndmask_b32_e64 v74, v230, v74, s[60:61]                 // 000000007CD4: D100004A 00F295E6
	v_cndmask_b32_e64 v63, v230, v63, s[60:61]                 // 000000007CDC: D100003F 00F27FE6
	v_cndmask_b32_e64 v75, v230, v75, s[60:61]                 // 000000007CE4: D100004B 00F297E6
	s_branch label_0FE0                                        // 000000007CEC: BF820009

0000000000007cf0 <label_0FD7>:
	v_mov_b32_e32 v60, v230                                    // 000000007CF0: 7E7803E6
	v_mov_b32_e32 v72, v230                                    // 000000007CF4: 7E9003E6
	v_mov_b32_e32 v61, v230                                    // 000000007CF8: 7E7A03E6
	v_mov_b32_e32 v73, v230                                    // 000000007CFC: 7E9203E6
	v_mov_b32_e32 v62, v230                                    // 000000007D00: 7E7C03E6
	v_mov_b32_e32 v74, v230                                    // 000000007D04: 7E9403E6
	v_mov_b32_e32 v63, v230                                    // 000000007D08: 7E7E03E6
	v_mov_b32_e32 v75, v230                                    // 000000007D0C: 7E9603E6
	s_branch label_0FE0                                        // 000000007D10: BF820000

0000000000007d14 <label_0FE0>:
	s_waitcnt lgkmcnt(8)                                       // 000000007D14: BF8CC87F
	s_barrier                                                  // 000000007D18: BF8A0000
	v_mfma_f32_16x16x16_bf16 v[76:79], v[108:109], a[72:73], 0 // 000000007D1C: D3E1004C 1202916C
	v_fma_f32 v52, v52, s57, -v140                             // 000000007D24: D1CB0034 86307334
	v_fma_f32 v53, v53, s57, -v141                             // 000000007D2C: D1CB0035 86347335
	v_fma_f32 v54, v54, s57, -v142                             // 000000007D34: D1CB0036 86387336
	v_fma_f32 v55, v55, s57, -v143                             // 000000007D3C: D1CB0037 863C7337
	v_fma_f32 v56, v56, s57, -v140                             // 000000007D44: D1CB0038 86307338
	v_fma_f32 v57, v57, s57, -v141                             // 000000007D4C: D1CB0039 86347339
	v_mfma_f32_16x16x16_bf16 v[76:79], v[110:111], a[74:75], v[76:79]// 000000007D54: D3E1004C 1532956E
	ds_read_b128 a[96:99], v14 offset:4352                     // 000000007D5C: DBFE1100 6000000E
	ds_read_b128 a[100:103], v14 offset:4864                   // 000000007D64: DBFE1300 6400000E
	v_mfma_f32_16x16x16_bf16 v[76:79], v[112:113], a[76:77], v[76:79]// 000000007D6C: D3E1004C 15329970
	v_fma_f32 v58, v58, s57, -v142                             // 000000007D74: D1CB003A 8638733A
	v_fma_f32 v59, v59, s57, -v143                             // 000000007D7C: D1CB003B 863C733B
	v_fma_f32 v60, v60, s57, -v140                             // 000000007D84: D1CB003C 8630733C
	v_fma_f32 v61, v61, s57, -v141                             // 000000007D8C: D1CB003D 8634733D
	v_fma_f32 v62, v62, s57, -v142                             // 000000007D94: D1CB003E 8638733E
	v_fma_f32 v63, v63, s57, -v143                             // 000000007D9C: D1CB003F 863C733F
	v_mfma_f32_16x16x16_bf16 v[76:79], v[114:115], a[78:79], v[76:79]// 000000007DA4: D3E1004C 15329D72
	v_fma_f32 v64, v64, s57, -v144                             // 000000007DAC: D1CB0040 86407340
	v_fma_f32 v65, v65, s57, -v145                             // 000000007DB4: D1CB0041 86447341
	v_fma_f32 v66, v66, s57, -v146                             // 000000007DBC: D1CB0042 86487342
	v_fma_f32 v67, v67, s57, -v147                             // 000000007DC4: D1CB0043 864C7343
	v_fma_f32 v68, v68, s57, -v144                             // 000000007DCC: D1CB0044 86407344
	v_fma_f32 v69, v69, s57, -v145                             // 000000007DD4: D1CB0045 86447345
	v_mfma_f32_16x16x16_bf16 v[80:83], v[108:109], a[80:81], 0 // 000000007DDC: D3E10050 1202A16C
	v_fma_f32 v70, v70, s57, -v146                             // 000000007DE4: D1CB0046 86487346
	v_fma_f32 v71, v71, s57, -v147                             // 000000007DEC: D1CB0047 864C7347
	v_fma_f32 v72, v72, s57, -v144                             // 000000007DF4: D1CB0048 86407348
	v_fma_f32 v73, v73, s57, -v145                             // 000000007DFC: D1CB0049 86447349
	v_fma_f32 v74, v74, s57, -v146                             // 000000007E04: D1CB004A 8648734A
	v_fma_f32 v75, v75, s57, -v147                             // 000000007E0C: D1CB004B 864C734B
	v_mfma_f32_16x16x16_bf16 v[80:83], v[110:111], a[82:83], v[80:83]// 000000007E14: D3E10050 1542A56E
	ds_read_b128 a[104:107], v14 offset:6528                   // 000000007E1C: DBFE1980 6800000E
	ds_read_b128 a[108:111], v14 offset:7040                   // 000000007E24: DBFE1B80 6C00000E
	v_mfma_f32_16x16x16_bf16 v[80:83], v[112:113], a[84:85], v[80:83]// 000000007E2C: D3E10050 1542A970
	v_exp_f32_e32 v52, v52                                     // 000000007E34: 7E684134
	v_exp_f32_e32 v53, v53                                     // 000000007E38: 7E6A4135
	v_mfma_f32_16x16x16_bf16 v[80:83], v[114:115], a[86:87], v[80:83]// 000000007E3C: D3E10050 1542AD72
	v_exp_f32_e32 v54, v54                                     // 000000007E44: 7E6C4136
	v_exp_f32_e32 v55, v55                                     // 000000007E48: 7E6E4137
	v_mfma_f32_16x16x16_bf16 v[84:87], v[108:109], a[88:89], 0 // 000000007E4C: D3E10054 1202B16C
	v_exp_f32_e32 v56, v56                                     // 000000007E54: 7E704138
	v_exp_f32_e32 v57, v57                                     // 000000007E58: 7E724139
	v_mfma_f32_16x16x16_bf16 v[84:87], v[110:111], a[90:91], v[84:87]// 000000007E5C: D3E10054 1552B56E
	ds_read_b64 v[156:157], v21 offset:31232                   // 000000007E64: D8EC7A00 9C000015
	ds_read_b64 v[158:159], v21 offset:33280                   // 000000007E6C: D8EC8200 9E000015
	v_mfma_f32_16x16x16_bf16 v[84:87], v[112:113], a[92:93], v[84:87]// 000000007E74: D3E10054 1552B970
	v_exp_f32_e32 v58, v58                                     // 000000007E7C: 7E74413A
	v_exp_f32_e32 v59, v59                                     // 000000007E80: 7E76413B
	v_mfma_f32_16x16x16_bf16 v[84:87], v[114:115], a[94:95], v[84:87]// 000000007E84: D3E10054 1552BD72
	ds_read_b64 v[160:161], v21 offset:35328                   // 000000007E8C: D8EC8A00 A0000015
	ds_read_b64 v[162:163], v21 offset:37376                   // 000000007E94: D8EC9200 A2000015
	v_mfma_f32_16x16x16_bf16 v[88:91], v[116:117], a[72:73], 0 // 000000007E9C: D3E10058 12029174
	v_exp_f32_e32 v60, v60                                     // 000000007EA4: 7E78413C
	v_exp_f32_e32 v61, v61                                     // 000000007EA8: 7E7A413D
	v_mfma_f32_16x16x16_bf16 v[88:91], v[118:119], a[74:75], v[88:91]// 000000007EAC: D3E10058 15629576
	v_exp_f32_e32 v62, v62                                     // 000000007EB4: 7E7C413E
	v_exp_f32_e32 v63, v63                                     // 000000007EB8: 7E7E413F
	v_mfma_f32_16x16x16_bf16 v[88:91], v[120:121], a[76:77], v[88:91]// 000000007EBC: D3E10058 15629978
	v_exp_f32_e32 v64, v64                                     // 000000007EC4: 7E804140
	v_exp_f32_e32 v65, v65                                     // 000000007EC8: 7E824141
	v_mfma_f32_16x16x16_bf16 v[88:91], v[122:123], a[78:79], v[88:91]// 000000007ECC: D3E10058 15629D7A
	v_exp_f32_e32 v66, v66                                     // 000000007ED4: 7E844142
	v_exp_f32_e32 v67, v67                                     // 000000007ED8: 7E864143
	v_mfma_f32_16x16x16_bf16 v[92:95], v[116:117], a[80:81], 0 // 000000007EDC: D3E1005C 1202A174
	v_exp_f32_e32 v68, v68                                     // 000000007EE4: 7E884144
	v_exp_f32_e32 v69, v69                                     // 000000007EE8: 7E8A4145
	v_mfma_f32_16x16x16_bf16 v[92:95], v[118:119], a[82:83], v[92:95]// 000000007EEC: D3E1005C 1572A576
	v_exp_f32_e32 v70, v70                                     // 000000007EF4: 7E8C4146
	v_exp_f32_e32 v71, v71                                     // 000000007EF8: 7E8E4147
	v_mfma_f32_16x16x16_bf16 v[92:95], v[120:121], a[84:85], v[92:95]// 000000007EFC: D3E1005C 1572A978
	v_exp_f32_e32 v72, v72                                     // 000000007F04: 7E904148
	v_exp_f32_e32 v73, v73                                     // 000000007F08: 7E924149
	v_mfma_f32_16x16x16_bf16 v[92:95], v[122:123], a[86:87], v[92:95]// 000000007F0C: D3E1005C 1572AD7A
	v_exp_f32_e32 v74, v74                                     // 000000007F14: 7E94414A
	v_exp_f32_e32 v75, v75                                     // 000000007F18: 7E96414B
	v_mfma_f32_16x16x16_bf16 v[96:99], v[116:117], a[88:89], 0 // 000000007F1C: D3E10060 1202B174
	v_cmp_u_f32_e64 s[74:75], v52, v52                         // 000000007F24: D048004A 00026934
	v_add3_u32 v226, v52, v229, 1                              // 000000007F2C: D1FF00E2 0207CB34
	v_cndmask_b32_e64 v32, v226, v228, s[74:75]                // 000000007F34: D1000020 012BC9E2
	v_cmp_u_f32_e64 s[74:75], v53, v53                         // 000000007F3C: D048004A 00026B35
	v_add3_u32 v226, v53, v229, 1                              // 000000007F44: D1FF00E2 0207CB35
	v_cndmask_b32_e64 v33, v226, v228, s[74:75]                // 000000007F4C: D1000021 012BC9E2
	v_perm_b32 v164, v33, v32, s64                             // 000000007F54: D1ED00A4 01024121
	v_cmp_u_f32_e64 s[74:75], v54, v54                         // 000000007F5C: D048004A 00026D36
	v_add3_u32 v226, v54, v229, 1                              // 000000007F64: D1FF00E2 0207CB36
	v_cndmask_b32_e64 v32, v226, v228, s[74:75]                // 000000007F6C: D1000020 012BC9E2
	v_cmp_u_f32_e64 s[74:75], v55, v55                         // 000000007F74: D048004A 00026F37
	v_add3_u32 v226, v55, v229, 1                              // 000000007F7C: D1FF00E2 0207CB37
	v_cndmask_b32_e64 v33, v226, v228, s[74:75]                // 000000007F84: D1000021 012BC9E2
	v_perm_b32 v165, v33, v32, s64                             // 000000007F8C: D1ED00A5 01024121
	v_cmp_u_f32_e64 s[74:75], v56, v56                         // 000000007F94: D048004A 00027138
	v_add3_u32 v226, v56, v229, 1                              // 000000007F9C: D1FF00E2 0207CB38
	v_cndmask_b32_e64 v32, v226, v228, s[74:75]                // 000000007FA4: D1000020 012BC9E2
	v_cmp_u_f32_e64 s[74:75], v57, v57                         // 000000007FAC: D048004A 00027339
	v_add3_u32 v226, v57, v229, 1                              // 000000007FB4: D1FF00E2 0207CB39
	v_cndmask_b32_e64 v33, v226, v228, s[74:75]                // 000000007FBC: D1000021 012BC9E2
	v_perm_b32 v166, v33, v32, s64                             // 000000007FC4: D1ED00A6 01024121
	v_cmp_u_f32_e64 s[74:75], v58, v58                         // 000000007FCC: D048004A 0002753A
	v_add3_u32 v226, v58, v229, 1                              // 000000007FD4: D1FF00E2 0207CB3A
	v_cndmask_b32_e64 v32, v226, v228, s[74:75]                // 000000007FDC: D1000020 012BC9E2
	v_cmp_u_f32_e64 s[74:75], v59, v59                         // 000000007FE4: D048004A 0002773B
	v_add3_u32 v226, v59, v229, 1                              // 000000007FEC: D1FF00E2 0207CB3B
	v_cndmask_b32_e64 v33, v226, v228, s[74:75]                // 000000007FF4: D1000021 012BC9E2
	v_perm_b32 v167, v33, v32, s64                             // 000000007FFC: D1ED00A7 01024121
	v_cmp_u_f32_e64 s[74:75], v60, v60                         // 000000008004: D048004A 0002793C
	v_add3_u32 v226, v60, v229, 1                              // 00000000800C: D1FF00E2 0207CB3C
	v_cndmask_b32_e64 v32, v226, v228, s[74:75]                // 000000008014: D1000020 012BC9E2
	v_cmp_u_f32_e64 s[74:75], v61, v61                         // 00000000801C: D048004A 00027B3D
	v_add3_u32 v226, v61, v229, 1                              // 000000008024: D1FF00E2 0207CB3D
	v_cndmask_b32_e64 v33, v226, v228, s[74:75]                // 00000000802C: D1000021 012BC9E2
	v_perm_b32 v168, v33, v32, s64                             // 000000008034: D1ED00A8 01024121
	v_cmp_u_f32_e64 s[74:75], v62, v62                         // 00000000803C: D048004A 00027D3E
	v_add3_u32 v226, v62, v229, 1                              // 000000008044: D1FF00E2 0207CB3E
	v_cndmask_b32_e64 v32, v226, v228, s[74:75]                // 00000000804C: D1000020 012BC9E2
	v_cmp_u_f32_e64 s[74:75], v63, v63                         // 000000008054: D048004A 00027F3F
	v_add3_u32 v226, v63, v229, 1                              // 00000000805C: D1FF00E2 0207CB3F
	v_cndmask_b32_e64 v33, v226, v228, s[74:75]                // 000000008064: D1000021 012BC9E2
	v_perm_b32 v169, v33, v32, s64                             // 00000000806C: D1ED00A9 01024121
	v_mfma_f32_16x16x16_bf16 v[96:99], v[118:119], a[90:91], v[96:99]// 000000008074: D3E10060 1582B576
	v_cmp_u_f32_e64 s[74:75], v64, v64                         // 00000000807C: D048004A 00028140
	v_add3_u32 v226, v64, v229, 1                              // 000000008084: D1FF00E2 0207CB40
	v_cndmask_b32_e64 v32, v226, v228, s[74:75]                // 00000000808C: D1000020 012BC9E2
	v_cmp_u_f32_e64 s[74:75], v65, v65                         // 000000008094: D048004A 00028341
	v_add3_u32 v226, v65, v229, 1                              // 00000000809C: D1FF00E2 0207CB41
	v_cndmask_b32_e64 v33, v226, v228, s[74:75]                // 0000000080A4: D1000021 012BC9E2
	v_perm_b32 v170, v33, v32, s64                             // 0000000080AC: D1ED00AA 01024121
	v_cmp_u_f32_e64 s[74:75], v66, v66                         // 0000000080B4: D048004A 00028542
	v_add3_u32 v226, v66, v229, 1                              // 0000000080BC: D1FF00E2 0207CB42
	v_cndmask_b32_e64 v32, v226, v228, s[74:75]                // 0000000080C4: D1000020 012BC9E2
	v_cmp_u_f32_e64 s[74:75], v67, v67                         // 0000000080CC: D048004A 00028743
	v_add3_u32 v226, v67, v229, 1                              // 0000000080D4: D1FF00E2 0207CB43
	v_cndmask_b32_e64 v33, v226, v228, s[74:75]                // 0000000080DC: D1000021 012BC9E2
	v_perm_b32 v171, v33, v32, s64                             // 0000000080E4: D1ED00AB 01024121
	v_cmp_u_f32_e64 s[74:75], v68, v68                         // 0000000080EC: D048004A 00028944
	v_add3_u32 v226, v68, v229, 1                              // 0000000080F4: D1FF00E2 0207CB44
	v_cndmask_b32_e64 v32, v226, v228, s[74:75]                // 0000000080FC: D1000020 012BC9E2
	v_cmp_u_f32_e64 s[74:75], v69, v69                         // 000000008104: D048004A 00028B45
	v_add3_u32 v226, v69, v229, 1                              // 00000000810C: D1FF00E2 0207CB45
	v_cndmask_b32_e64 v33, v226, v228, s[74:75]                // 000000008114: D1000021 012BC9E2
	v_perm_b32 v172, v33, v32, s64                             // 00000000811C: D1ED00AC 01024121
	v_cmp_u_f32_e64 s[74:75], v70, v70                         // 000000008124: D048004A 00028D46
	v_add3_u32 v226, v70, v229, 1                              // 00000000812C: D1FF00E2 0207CB46
	v_cndmask_b32_e64 v32, v226, v228, s[74:75]                // 000000008134: D1000020 012BC9E2
	v_cmp_u_f32_e64 s[74:75], v71, v71                         // 00000000813C: D048004A 00028F47
	v_add3_u32 v226, v71, v229, 1                              // 000000008144: D1FF00E2 0207CB47
	v_cndmask_b32_e64 v33, v226, v228, s[74:75]                // 00000000814C: D1000021 012BC9E2
	v_perm_b32 v173, v33, v32, s64                             // 000000008154: D1ED00AD 01024121
	v_cmp_u_f32_e64 s[74:75], v72, v72                         // 00000000815C: D048004A 00029148
	v_add3_u32 v226, v72, v229, 1                              // 000000008164: D1FF00E2 0207CB48
	v_cndmask_b32_e64 v32, v226, v228, s[74:75]                // 00000000816C: D1000020 012BC9E2
	v_cmp_u_f32_e64 s[74:75], v73, v73                         // 000000008174: D048004A 00029349
	v_add3_u32 v226, v73, v229, 1                              // 00000000817C: D1FF00E2 0207CB49
	v_cndmask_b32_e64 v33, v226, v228, s[74:75]                // 000000008184: D1000021 012BC9E2
	v_perm_b32 v174, v33, v32, s64                             // 00000000818C: D1ED00AE 01024121
	v_cmp_u_f32_e64 s[74:75], v74, v74                         // 000000008194: D048004A 0002954A
	v_add3_u32 v226, v74, v229, 1                              // 00000000819C: D1FF00E2 0207CB4A
	v_cndmask_b32_e64 v32, v226, v228, s[74:75]                // 0000000081A4: D1000020 012BC9E2
	v_cmp_u_f32_e64 s[74:75], v75, v75                         // 0000000081AC: D048004A 0002974B
	v_add3_u32 v226, v75, v229, 1                              // 0000000081B4: D1FF00E2 0207CB4B
	v_cndmask_b32_e64 v33, v226, v228, s[74:75]                // 0000000081BC: D1000021 012BC9E2
	v_perm_b32 v175, v33, v32, s64                             // 0000000081C4: D1ED00AF 01024121
	v_mfma_f32_16x16x16_bf16 v[96:99], v[120:121], a[92:93], v[96:99]// 0000000081CC: D3E10060 1582B978
	v_add_u32_e32 v6, s66, v6                                  // 0000000081D4: 680C0C42
	v_add_u32_e32 v7, s66, v7                                  // 0000000081D8: 680E0E42
	v_add_u32_e32 v8, s66, v8                                  // 0000000081DC: 68101042
	v_add_u32_e32 v9, s66, v9                                  // 0000000081E0: 68121242
	v_mfma_f32_16x16x16_bf16 v[96:99], v[122:123], a[94:95], v[96:99]// 0000000081E4: D3E10060 1582BD7A
	s_waitcnt lgkmcnt(0)                                       // 0000000081EC: BF8CC07F
	s_barrier                                                  // 0000000081F0: BF8A0000
	v_mfma_f32_16x16x16_bf16 v[178:181], v[124:125], v[164:165], v[178:181]// 0000000081F4: D3E100B2 06CB497C
	v_subrev_f32_dpp v76, v176, v76 quad_perm:[0,0,0,0] row_mask:0xf bank_mask:0xf// 0000000081FC: 069898FA FF0000B0
	v_subrev_f32_dpp v77, v176, v77 quad_perm:[1,1,1,1] row_mask:0xf bank_mask:0xf// 000000008204: 069A9AFA FF0055B0
	v_subrev_f32_dpp v78, v176, v78 quad_perm:[2,2,2,2] row_mask:0xf bank_mask:0xf// 00000000820C: 069C9CFA FF00AAB0
	v_subrev_f32_dpp v79, v176, v79 quad_perm:[3,3,3,3] row_mask:0xf bank_mask:0xf// 000000008214: 069E9EFA FF00FFB0
	v_subrev_f32_dpp v80, v176, v80 quad_perm:[0,0,0,0] row_mask:0xf bank_mask:0xf// 00000000821C: 06A0A0FA FF0000B0
	v_subrev_f32_dpp v81, v176, v81 quad_perm:[1,1,1,1] row_mask:0xf bank_mask:0xf// 000000008224: 06A2A2FA FF0055B0
	v_mfma_f32_16x16x16_bf16 v[182:185], v[126:127], v[164:165], v[182:185]// 00000000822C: D3E100B6 06DB497E
	v_subrev_f32_dpp v82, v176, v82 quad_perm:[2,2,2,2] row_mask:0xf bank_mask:0xf// 000000008234: 06A4A4FA FF00AAB0
	v_subrev_f32_dpp v83, v176, v83 quad_perm:[3,3,3,3] row_mask:0xf bank_mask:0xf// 00000000823C: 06A6A6FA FF00FFB0
	v_subrev_f32_dpp v84, v176, v84 quad_perm:[0,0,0,0] row_mask:0xf bank_mask:0xf// 000000008244: 06A8A8FA FF0000B0
	v_subrev_f32_dpp v85, v176, v85 quad_perm:[1,1,1,1] row_mask:0xf bank_mask:0xf// 00000000824C: 06AAAAFA FF0055B0
	v_subrev_f32_dpp v86, v176, v86 quad_perm:[2,2,2,2] row_mask:0xf bank_mask:0xf// 000000008254: 06ACACFA FF00AAB0
	v_subrev_f32_dpp v87, v176, v87 quad_perm:[3,3,3,3] row_mask:0xf bank_mask:0xf// 00000000825C: 06AEAEFA FF00FFB0
	v_mfma_f32_16x16x16_bf16 v[186:189], v[128:129], v[164:165], v[186:189]// 000000008264: D3E100BA 06EB4980
	v_mul_f32_e32 v76, v52, v76                                // 00000000826C: 0A989934
	v_mul_f32_e32 v77, v53, v77                                // 000000008270: 0A9A9B35
	v_mul_f32_e32 v78, v54, v78                                // 000000008274: 0A9C9D36
	v_mul_f32_e32 v79, v55, v79                                // 000000008278: 0A9E9F37
	v_mul_f32_e32 v80, v56, v80                                // 00000000827C: 0AA0A138
	v_mul_f32_e32 v81, v57, v81                                // 000000008280: 0AA2A339
	v_mfma_f32_16x16x16_bf16 v[190:193], v[130:131], v[164:165], v[190:193]// 000000008284: D3E100BE 06FB4982
	v_mul_f32_e32 v82, v58, v82                                // 00000000828C: 0AA4A53A
	v_mul_f32_e32 v83, v59, v83                                // 000000008290: 0AA6A73B
	v_mul_f32_e32 v84, v60, v84                                // 000000008294: 0AA8A93C
	v_mul_f32_e32 v85, v61, v85                                // 000000008298: 0AAAAB3D
	v_mul_f32_e32 v86, v62, v86                                // 00000000829C: 0AACAD3E
	v_mul_f32_e32 v87, v63, v87                                // 0000000082A0: 0AAEAF3F
	v_mfma_f32_16x16x16_bf16 v[194:197], v[124:125], v[166:167], v[194:197]// 0000000082A4: D3E100C2 070B4D7C
	v_cmp_u_f32_e64 s[74:75], v76, v76                         // 0000000082AC: D048004A 0002994C
	v_add3_u32 v226, v76, v229, 1                              // 0000000082B4: D1FF00E2 0207CB4C
	v_cndmask_b32_e64 v32, v226, v228, s[74:75]                // 0000000082BC: D1000020 012BC9E2
	v_cmp_u_f32_e64 s[74:75], v77, v77                         // 0000000082C4: D048004A 00029B4D
	v_add3_u32 v226, v77, v229, 1                              // 0000000082CC: D1FF00E2 0207CB4D
	v_cndmask_b32_e64 v33, v226, v228, s[74:75]                // 0000000082D4: D1000021 012BC9E2
	v_perm_b32 v76, v33, v32, s64                              // 0000000082DC: D1ED004C 01024121
	v_cmp_u_f32_e64 s[74:75], v78, v78                         // 0000000082E4: D048004A 00029D4E
	v_add3_u32 v226, v78, v229, 1                              // 0000000082EC: D1FF00E2 0207CB4E
	v_cndmask_b32_e64 v32, v226, v228, s[74:75]                // 0000000082F4: D1000020 012BC9E2
	v_cmp_u_f32_e64 s[74:75], v79, v79                         // 0000000082FC: D048004A 00029F4F
	v_add3_u32 v226, v79, v229, 1                              // 000000008304: D1FF00E2 0207CB4F
	v_cndmask_b32_e64 v33, v226, v228, s[74:75]                // 00000000830C: D1000021 012BC9E2
	v_perm_b32 v77, v33, v32, s64                              // 000000008314: D1ED004D 01024121
	v_cmp_u_f32_e64 s[74:75], v80, v80                         // 00000000831C: D048004A 0002A150
	v_add3_u32 v226, v80, v229, 1                              // 000000008324: D1FF00E2 0207CB50
	v_cndmask_b32_e64 v32, v226, v228, s[74:75]                // 00000000832C: D1000020 012BC9E2
	v_cmp_u_f32_e64 s[74:75], v81, v81                         // 000000008334: D048004A 0002A351
	v_add3_u32 v226, v81, v229, 1                              // 00000000833C: D1FF00E2 0207CB51
	v_cndmask_b32_e64 v33, v226, v228, s[74:75]                // 000000008344: D1000021 012BC9E2
	v_perm_b32 v78, v33, v32, s64                              // 00000000834C: D1ED004E 01024121
	v_cmp_u_f32_e64 s[74:75], v82, v82                         // 000000008354: D048004A 0002A552
	v_add3_u32 v226, v82, v229, 1                              // 00000000835C: D1FF00E2 0207CB52
	v_cndmask_b32_e64 v32, v226, v228, s[74:75]                // 000000008364: D1000020 012BC9E2
	v_cmp_u_f32_e64 s[74:75], v83, v83                         // 00000000836C: D048004A 0002A753
	v_add3_u32 v226, v83, v229, 1                              // 000000008374: D1FF00E2 0207CB53
	v_cndmask_b32_e64 v33, v226, v228, s[74:75]                // 00000000837C: D1000021 012BC9E2
	v_perm_b32 v79, v33, v32, s64                              // 000000008384: D1ED004F 01024121
	v_cmp_u_f32_e64 s[74:75], v84, v84                         // 00000000838C: D048004A 0002A954
	v_add3_u32 v226, v84, v229, 1                              // 000000008394: D1FF00E2 0207CB54
	v_cndmask_b32_e64 v32, v226, v228, s[74:75]                // 00000000839C: D1000020 012BC9E2
	v_cmp_u_f32_e64 s[74:75], v85, v85                         // 0000000083A4: D048004A 0002AB55
	v_add3_u32 v226, v85, v229, 1                              // 0000000083AC: D1FF00E2 0207CB55
	v_cndmask_b32_e64 v33, v226, v228, s[74:75]                // 0000000083B4: D1000021 012BC9E2
	v_perm_b32 v80, v33, v32, s64                              // 0000000083BC: D1ED0050 01024121
	v_cmp_u_f32_e64 s[74:75], v86, v86                         // 0000000083C4: D048004A 0002AD56
	v_add3_u32 v226, v86, v229, 1                              // 0000000083CC: D1FF00E2 0207CB56
	v_cndmask_b32_e64 v32, v226, v228, s[74:75]                // 0000000083D4: D1000020 012BC9E2
	v_cmp_u_f32_e64 s[74:75], v87, v87                         // 0000000083DC: D048004A 0002AF57
	v_add3_u32 v226, v87, v229, 1                              // 0000000083E4: D1FF00E2 0207CB57
	v_cndmask_b32_e64 v33, v226, v228, s[74:75]                // 0000000083EC: D1000021 012BC9E2
	v_perm_b32 v81, v33, v32, s64                              // 0000000083F4: D1ED0051 01024121
	v_mfma_f32_16x16x16_bf16 v[198:201], v[126:127], v[166:167], v[198:201]// 0000000083FC: D3E100C6 071B4D7E
	v_mov_b32_dpp v18, v76 quad_perm:[1,0,3,2] row_mask:0xf bank_mask:0xf// 000000008404: 7E2402FA FF00B14C
	v_perm_b32 v52, v18, v76, v17                              // 00000000840C: D1ED0034 04469912
	v_mov_b32_dpp v18, v77 quad_perm:[1,0,3,2] row_mask:0xf bank_mask:0xf// 000000008414: 7E2402FA FF00B14D
	v_perm_b32 v53, v18, v77, v17                              // 00000000841C: D1ED0035 04469B12
	v_mov_b32_dpp v18, v78 quad_perm:[1,0,3,2] row_mask:0xf bank_mask:0xf// 000000008424: 7E2402FA FF00B14E
	v_perm_b32 v54, v18, v78, v17                              // 00000000842C: D1ED0036 04469D12
	v_mfma_f32_16x16x16_bf16 v[202:205], v[128:129], v[166:167], v[202:205]// 000000008434: D3E100CA 072B4D80
	ds_write_b32 v20, v52 offset:17408                         // 00000000843C: D81A4400 00003414
	ds_write_b32 v20, v53 offset:17952                         // 000000008444: D81A4620 00003514
	v_mfma_f32_16x16x16_bf16 v[206:209], v[130:131], v[166:167], v[206:209]// 00000000844C: D3E100CE 073B4D82
	v_mov_b32_dpp v18, v79 quad_perm:[1,0,3,2] row_mask:0xf bank_mask:0xf// 000000008454: 7E2402FA FF00B14F
	v_perm_b32 v55, v18, v79, v17                              // 00000000845C: D1ED0037 04469F12
	v_mov_b32_dpp v18, v80 quad_perm:[1,0,3,2] row_mask:0xf bank_mask:0xf// 000000008464: 7E2402FA FF00B150
	v_perm_b32 v56, v18, v80, v17                              // 00000000846C: D1ED0038 0446A112
	v_mov_b32_dpp v18, v81 quad_perm:[1,0,3,2] row_mask:0xf bank_mask:0xf// 000000008474: 7E2402FA FF00B151
	v_perm_b32 v57, v18, v81, v17                              // 00000000847C: D1ED0039 0446A312
	v_mfma_f32_16x16x16_bf16 v[210:213], v[124:125], v[168:169], v[210:213]// 000000008484: D3E100D2 074B517C
	ds_write_b32 v20, v54 offset:19712                         // 00000000848C: D81A4D00 00003614
	ds_write_b32 v20, v55 offset:20256                         // 000000008494: D81A4F20 00003714
	v_mfma_f32_16x16x16_bf16 v[214:217], v[126:127], v[168:169], v[214:217]// 00000000849C: D3E100D6 075B517E
	v_subrev_f32_dpp v88, v177, v88 quad_perm:[0,0,0,0] row_mask:0xf bank_mask:0xf// 0000000084A4: 06B0B0FA FF0000B1
	v_subrev_f32_dpp v89, v177, v89 quad_perm:[1,1,1,1] row_mask:0xf bank_mask:0xf// 0000000084AC: 06B2B2FA FF0055B1
	v_subrev_f32_dpp v90, v177, v90 quad_perm:[2,2,2,2] row_mask:0xf bank_mask:0xf// 0000000084B4: 06B4B4FA FF00AAB1
	v_subrev_f32_dpp v91, v177, v91 quad_perm:[3,3,3,3] row_mask:0xf bank_mask:0xf// 0000000084BC: 06B6B6FA FF00FFB1
	v_subrev_f32_dpp v92, v177, v92 quad_perm:[0,0,0,0] row_mask:0xf bank_mask:0xf// 0000000084C4: 06B8B8FA FF0000B1
	v_subrev_f32_dpp v93, v177, v93 quad_perm:[1,1,1,1] row_mask:0xf bank_mask:0xf// 0000000084CC: 06BABAFA FF0055B1
	v_mfma_f32_16x16x16_bf16 v[218:221], v[128:129], v[168:169], v[218:221]// 0000000084D4: D3E100DA 076B5180
	ds_write_b32 v20, v56 offset:22016                         // 0000000084DC: D81A5600 00003814
	ds_write_b32 v20, v57 offset:22560                         // 0000000084E4: D81A5820 00003914
	v_mfma_f32_16x16x16_bf16 v[222:225], v[130:131], v[168:169], v[222:225]// 0000000084EC: D3E100DE 077B5182
	v_subrev_f32_dpp v94, v177, v94 quad_perm:[2,2,2,2] row_mask:0xf bank_mask:0xf// 0000000084F4: 06BCBCFA FF00AAB1
	v_subrev_f32_dpp v95, v177, v95 quad_perm:[3,3,3,3] row_mask:0xf bank_mask:0xf// 0000000084FC: 06BEBEFA FF00FFB1
	v_subrev_f32_dpp v96, v177, v96 quad_perm:[0,0,0,0] row_mask:0xf bank_mask:0xf// 000000008504: 06C0C0FA FF0000B1
	v_subrev_f32_dpp v97, v177, v97 quad_perm:[1,1,1,1] row_mask:0xf bank_mask:0xf// 00000000850C: 06C2C2FA FF0055B1
	v_subrev_f32_dpp v98, v177, v98 quad_perm:[2,2,2,2] row_mask:0xf bank_mask:0xf// 000000008514: 06C4C4FA FF00AAB1
	v_subrev_f32_dpp v99, v177, v99 quad_perm:[3,3,3,3] row_mask:0xf bank_mask:0xf// 00000000851C: 06C6C6FA FF00FFB1
	v_mfma_f32_16x16x16_bf16 v[178:181], v[132:133], v[170:171], v[178:181]// 000000008524: D3E100B2 06CB5584
	v_mul_f32_e32 v88, v64, v88                                // 00000000852C: 0AB0B140
	v_mul_f32_e32 v89, v65, v89                                // 000000008530: 0AB2B341
	v_mul_f32_e32 v90, v66, v90                                // 000000008534: 0AB4B542
	v_mul_f32_e32 v91, v67, v91                                // 000000008538: 0AB6B743
	v_mul_f32_e32 v92, v68, v92                                // 00000000853C: 0AB8B944
	v_mul_f32_e32 v93, v69, v93                                // 000000008540: 0ABABB45
	v_mfma_f32_16x16x16_bf16 v[182:185], v[134:135], v[170:171], v[182:185]// 000000008544: D3E100B6 06DB5586
	v_mul_f32_e32 v94, v70, v94                                // 00000000854C: 0ABCBD46
	v_mul_f32_e32 v95, v71, v95                                // 000000008550: 0ABEBF47
	v_mul_f32_e32 v96, v72, v96                                // 000000008554: 0AC0C148
	v_mul_f32_e32 v97, v73, v97                                // 000000008558: 0AC2C349
	v_mul_f32_e32 v98, v74, v98                                // 00000000855C: 0AC4C54A
	v_mul_f32_e32 v99, v75, v99                                // 000000008560: 0AC6C74B
	v_mfma_f32_16x16x16_bf16 v[186:189], v[136:137], v[170:171], v[186:189]// 000000008564: D3E100BA 06EB5588
	v_cmp_u_f32_e64 s[74:75], v88, v88                         // 00000000856C: D048004A 0002B158
	v_add3_u32 v226, v88, v229, 1                              // 000000008574: D1FF00E2 0207CB58
	v_cndmask_b32_e64 v32, v226, v228, s[74:75]                // 00000000857C: D1000020 012BC9E2
	v_cmp_u_f32_e64 s[74:75], v89, v89                         // 000000008584: D048004A 0002B359
	v_add3_u32 v226, v89, v229, 1                              // 00000000858C: D1FF00E2 0207CB59
	v_cndmask_b32_e64 v33, v226, v228, s[74:75]                // 000000008594: D1000021 012BC9E2
	v_perm_b32 v82, v33, v32, s64                              // 00000000859C: D1ED0052 01024121
	v_cmp_u_f32_e64 s[74:75], v90, v90                         // 0000000085A4: D048004A 0002B55A
	v_add3_u32 v226, v90, v229, 1                              // 0000000085AC: D1FF00E2 0207CB5A
	v_cndmask_b32_e64 v32, v226, v228, s[74:75]                // 0000000085B4: D1000020 012BC9E2
	v_cmp_u_f32_e64 s[74:75], v91, v91                         // 0000000085BC: D048004A 0002B75B
	v_add3_u32 v226, v91, v229, 1                              // 0000000085C4: D1FF00E2 0207CB5B
	v_cndmask_b32_e64 v33, v226, v228, s[74:75]                // 0000000085CC: D1000021 012BC9E2
	v_perm_b32 v83, v33, v32, s64                              // 0000000085D4: D1ED0053 01024121
	v_cmp_u_f32_e64 s[74:75], v92, v92                         // 0000000085DC: D048004A 0002B95C
	v_add3_u32 v226, v92, v229, 1                              // 0000000085E4: D1FF00E2 0207CB5C
	v_cndmask_b32_e64 v32, v226, v228, s[74:75]                // 0000000085EC: D1000020 012BC9E2
	v_cmp_u_f32_e64 s[74:75], v93, v93                         // 0000000085F4: D048004A 0002BB5D
	v_add3_u32 v226, v93, v229, 1                              // 0000000085FC: D1FF00E2 0207CB5D
	v_cndmask_b32_e64 v33, v226, v228, s[74:75]                // 000000008604: D1000021 012BC9E2
	v_perm_b32 v84, v33, v32, s64                              // 00000000860C: D1ED0054 01024121
	v_cmp_u_f32_e64 s[74:75], v94, v94                         // 000000008614: D048004A 0002BD5E
	v_add3_u32 v226, v94, v229, 1                              // 00000000861C: D1FF00E2 0207CB5E
	v_cndmask_b32_e64 v32, v226, v228, s[74:75]                // 000000008624: D1000020 012BC9E2
	v_cmp_u_f32_e64 s[74:75], v95, v95                         // 00000000862C: D048004A 0002BF5F
	v_add3_u32 v226, v95, v229, 1                              // 000000008634: D1FF00E2 0207CB5F
	v_cndmask_b32_e64 v33, v226, v228, s[74:75]                // 00000000863C: D1000021 012BC9E2
	v_perm_b32 v85, v33, v32, s64                              // 000000008644: D1ED0055 01024121
	v_cmp_u_f32_e64 s[74:75], v96, v96                         // 00000000864C: D048004A 0002C160
	v_add3_u32 v226, v96, v229, 1                              // 000000008654: D1FF00E2 0207CB60
	v_cndmask_b32_e64 v32, v226, v228, s[74:75]                // 00000000865C: D1000020 012BC9E2
	v_cmp_u_f32_e64 s[74:75], v97, v97                         // 000000008664: D048004A 0002C361
	v_add3_u32 v226, v97, v229, 1                              // 00000000866C: D1FF00E2 0207CB61
	v_cndmask_b32_e64 v33, v226, v228, s[74:75]                // 000000008674: D1000021 012BC9E2
	v_perm_b32 v86, v33, v32, s64                              // 00000000867C: D1ED0056 01024121
	v_cmp_u_f32_e64 s[74:75], v98, v98                         // 000000008684: D048004A 0002C562
	v_add3_u32 v226, v98, v229, 1                              // 00000000868C: D1FF00E2 0207CB62
	v_cndmask_b32_e64 v32, v226, v228, s[74:75]                // 000000008694: D1000020 012BC9E2
	v_cmp_u_f32_e64 s[74:75], v99, v99                         // 00000000869C: D048004A 0002C763
	v_add3_u32 v226, v99, v229, 1                              // 0000000086A4: D1FF00E2 0207CB63
	v_cndmask_b32_e64 v33, v226, v228, s[74:75]                // 0000000086AC: D1000021 012BC9E2
	v_perm_b32 v87, v33, v32, s64                              // 0000000086B4: D1ED0057 01024121
	v_mfma_f32_16x16x16_bf16 v[190:193], v[138:139], v[170:171], v[190:193]// 0000000086BC: D3E100BE 06FB558A
	v_mov_b32_dpp v18, v82 quad_perm:[1,0,3,2] row_mask:0xf bank_mask:0xf// 0000000086C4: 7E2402FA FF00B152
	v_perm_b32 v58, v18, v82, v17                              // 0000000086CC: D1ED003A 0446A512
	v_mov_b32_dpp v18, v83 quad_perm:[1,0,3,2] row_mask:0xf bank_mask:0xf// 0000000086D4: 7E2402FA FF00B153
	v_perm_b32 v59, v18, v83, v17                              // 0000000086DC: D1ED003B 0446A712
	v_mov_b32_dpp v18, v84 quad_perm:[1,0,3,2] row_mask:0xf bank_mask:0xf// 0000000086E4: 7E2402FA FF00B154
	v_perm_b32 v60, v18, v84, v17                              // 0000000086EC: D1ED003C 0446A912
	v_mfma_f32_16x16x16_bf16 v[194:197], v[132:133], v[172:173], v[194:197]// 0000000086F4: D3E100C2 070B5984
	ds_write_b32 v20, v58 offset:24320                         // 0000000086FC: D81A5F00 00003A14
	ds_write_b32 v20, v59 offset:24864                         // 000000008704: D81A6120 00003B14
	v_mfma_f32_16x16x16_bf16 v[198:201], v[134:135], v[172:173], v[198:201]// 00000000870C: D3E100C6 071B5986
	v_mov_b32_dpp v18, v85 quad_perm:[1,0,3,2] row_mask:0xf bank_mask:0xf// 000000008714: 7E2402FA FF00B155
	v_perm_b32 v61, v18, v85, v17                              // 00000000871C: D1ED003D 0446AB12
	v_mov_b32_dpp v18, v86 quad_perm:[1,0,3,2] row_mask:0xf bank_mask:0xf// 000000008724: 7E2402FA FF00B156
	v_perm_b32 v62, v18, v86, v17                              // 00000000872C: D1ED003E 0446AD12
	v_mov_b32_dpp v18, v87 quad_perm:[1,0,3,2] row_mask:0xf bank_mask:0xf// 000000008734: 7E2402FA FF00B157
	v_perm_b32 v63, v18, v87, v17                              // 00000000873C: D1ED003F 0446AF12
	v_mfma_f32_16x16x16_bf16 v[202:205], v[136:137], v[172:173], v[202:205]// 000000008744: D3E100CA 072B5988
	ds_write_b32 v20, v60 offset:26624                         // 00000000874C: D81A6800 00003C14
	ds_write_b32 v20, v61 offset:27168                         // 000000008754: D81A6A20 00003D14
	ds_write_b32 v20, v62 offset:28928                         // 00000000875C: D81A7100 00003E14
	ds_write_b32 v20, v63 offset:29472                         // 000000008764: D81A7320 00003F14
	v_mfma_f32_16x16x16_bf16 v[206:209], v[138:139], v[172:173], v[206:209]// 00000000876C: D3E100CE 073B598A
	v_mfma_f32_16x16x16_bf16 v[210:213], v[132:133], v[174:175], v[210:213]// 000000008774: D3E100D2 074B5D84
	ds_write_b32 v15, v100 offset:4352                         // 00000000877C: D81A1100 0000640F
	ds_write_b32 v15, v101 offset:5408                         // 000000008784: D81A1520 0000650F
	v_mfma_f32_16x16x16_bf16 v[214:217], v[134:135], v[174:175], v[214:217]// 00000000878C: D3E100D6 075B5D86
	v_mfma_f32_16x16x16_bf16 v[218:221], v[136:137], v[174:175], v[218:221]// 000000008794: D3E100DA 076B5D88
	ds_write_b32 v15, v102 offset:6528                         // 00000000879C: D81A1980 0000660F
	ds_write_b32 v15, v103 offset:7584                         // 0000000087A4: D81A1DA0 0000670F
	v_mfma_f32_16x16x16_bf16 v[222:225], v[138:139], v[174:175], v[222:225]// 0000000087AC: D3E100DE 077B5D8A
	s_nop 0                                                    // 0000000087B4: BF800000
	s_nop 0                                                    // 0000000087B8: BF800000
	s_nop 0                                                    // 0000000087BC: BF800000
	s_barrier                                                  // 0000000087C0: BF8A0000
	v_mfma_f32_16x16x16_bf16 a[112:115], a[96:97], v[76:77], a[112:115]// 0000000087C4: D3E18070 0DC29960
	ds_read_b32 v140, v23 offset:39936                         // 0000000087CC: D86C9C00 8C000017
	ds_read_b32 v144, v23 offset:40000                         // 0000000087D4: D86C9C40 90000017
	ds_read_b32 v176, v23 offset:40192                         // 0000000087DC: D86C9D00 B0000017
	ds_read_b32 v177, v23 offset:40256                         // 0000000087E4: D86C9D40 B1000017
	v_mfma_f32_16x16x16_bf16 a[116:119], a[98:99], v[76:77], a[116:119]// 0000000087EC: D3E18074 0DD29962
	buffer_atomic_add_f32 v156, v6, s[32:35], 0 idxen          // 0000000087F4: E1342000 80089C06
	v_mfma_f32_16x16x16_bf16 a[120:123], a[100:101], v[76:77], a[120:123]// 0000000087FC: D3E18078 0DE29964
	s_waitcnt lgkmcnt(8)                                       // 000000008804: BF8CC87F
	s_barrier                                                  // 000000008808: BF8A0000
	v_mfma_f32_16x16x16_bf16 a[124:127], a[102:103], v[76:77], a[124:127]// 00000000880C: D3E1807C 0DF29966
	v_mfma_f32_16x16x16_bf16 a[128:131], a[96:97], v[78:79], a[128:131]// 000000008814: D3E18080 0E029D60
	ds_read_b128 v[52:55], v19 offset:17408                    // 00000000881C: D9FE4400 34000013
	v_mfma_f32_16x16x16_bf16 a[132:135], a[98:99], v[78:79], a[132:135]// 000000008824: D3E18084 0E129D62
	v_mfma_f32_16x16x16_bf16 a[136:139], a[100:101], v[78:79], a[136:139]// 00000000882C: D3E18088 0E229D64
	ds_read_b128 v[56:59], v19 offset:18560                    // 000000008834: D9FE4880 38000013
	v_mfma_f32_16x16x16_bf16 a[140:143], a[102:103], v[78:79], a[140:143]// 00000000883C: D3E1808C 0E329D66
	buffer_atomic_add_f32 v157, v7, s[32:35], 0 idxen          // 000000008844: E1342000 80089D07
	v_mfma_f32_16x16x16_bf16 a[144:147], a[96:97], v[80:81], a[144:147]// 00000000884C: D3E18090 0E42A160
	ds_read_b128 v[60:63], v19 offset:19712                    // 000000008854: D9FE4D00 3C000013
	v_mfma_f32_16x16x16_bf16 a[148:151], a[98:99], v[80:81], a[148:151]// 00000000885C: D3E18094 0E52A162
	v_mfma_f32_16x16x16_bf16 a[152:155], a[100:101], v[80:81], a[152:155]// 000000008864: D3E18098 0E62A164
	ds_read_b128 v[64:67], v19 offset:20864                    // 00000000886C: D9FE5180 40000013
	v_mfma_f32_16x16x16_bf16 a[156:159], a[102:103], v[80:81], a[156:159]// 000000008874: D3E1809C 0E72A166
	v_mfma_f32_16x16x16_bf16 a[112:115], a[104:105], v[82:83], a[112:115]// 00000000887C: D3E18070 0DC2A568
	ds_read_b128 v[68:71], v19 offset:22016                    // 000000008884: D9FE5600 44000013
	v_mfma_f32_16x16x16_bf16 a[116:119], a[106:107], v[82:83], a[116:119]// 00000000888C: D3E18074 0DD2A56A
	buffer_atomic_add_f32 v158, v6, s[32:35], 0 idxen offset:128// 000000008894: E1342080 80089E06
	v_mfma_f32_16x16x16_bf16 a[120:123], a[108:109], v[82:83], a[120:123]// 00000000889C: D3E18078 0DE2A56C
	ds_read_b128 v[72:75], v19 offset:23168                    // 0000000088A4: D9FE5A80 48000013
	v_mfma_f32_16x16x16_bf16 a[124:127], a[110:111], v[82:83], a[124:127]// 0000000088AC: D3E1807C 0DF2A56E
	v_mfma_f32_16x16x16_bf16 a[128:131], a[104:105], v[84:85], a[128:131]// 0000000088B4: D3E18080 0E02A968
	ds_write_b32 v15, v104 offset:13056                        // 0000000088BC: D81A3300 0000680F
	v_mfma_f32_16x16x16_bf16 a[132:135], a[106:107], v[84:85], a[132:135]// 0000000088C4: D3E18084 0E12A96A
	v_mfma_f32_16x16x16_bf16 a[136:139], a[108:109], v[84:85], a[136:139]// 0000000088CC: D3E18088 0E22A96C
	ds_write_b32 v15, v105 offset:14112                        // 0000000088D4: D81A3720 0000690F
	v_mfma_f32_16x16x16_bf16 a[140:143], a[110:111], v[84:85], a[140:143]// 0000000088DC: D3E1808C 0E32A96E
	buffer_atomic_add_f32 v159, v7, s[32:35], 0 idxen offset:128// 0000000088E4: E1342080 80089F07
	v_mfma_f32_16x16x16_bf16 a[144:147], a[104:105], v[86:87], a[144:147]// 0000000088EC: D3E18090 0E42AD68
	ds_write_b32 v15, v106 offset:15232                        // 0000000088F4: D81A3B80 00006A0F
	v_mfma_f32_16x16x16_bf16 a[148:151], a[106:107], v[86:87], a[148:151]// 0000000088FC: D3E18094 0E52AD6A
	v_mfma_f32_16x16x16_bf16 a[152:155], a[108:109], v[86:87], a[152:155]// 000000008904: D3E18098 0E62AD6C
	ds_write_b32 v15, v107 offset:16288                        // 00000000890C: D81A3FA0 00006B0F
	v_mfma_f32_16x16x16_bf16 a[156:159], a[110:111], v[86:87], a[156:159]// 000000008914: D3E1809C 0E72AD6E
	s_waitcnt vmcnt(8) lgkmcnt(4)                              // 00000000891C: BF8C0478
	s_barrier                                                  // 000000008920: BF8A0000
	v_mfma_f32_16x16x16_bf16 v[148:151], v[52:53], a[24:25], 0 // 000000008924: D3E10094 12023134
	ds_read_b128 a[96:99], v12                                 // 00000000892C: DBFE0000 6000000C
	buffer_load_dword v40, v1, s[8:11], 0 idxen                // 000000008934: E0502000 80022801
	v_mfma_f32_16x16x16_bf16 v[148:151], v[54:55], a[28:29], v[148:151]// 00000000893C: D3E10094 16523936
	v_mul_f32_e32 v140, s48, v140                              // 000000008944: 0B191830
	v_mul_f32_e32 v144, s48, v144                              // 000000008948: 0B212030
	s_nop 0                                                    // 00000000894C: BF800000
	v_mfma_f32_16x16x16_bf16 v[148:151], v[56:57], a[32:33], v[148:151]// 000000008950: D3E10094 16524138
	ds_read_b128 a[100:103], v12 offset:512                    // 000000008958: DBFE0200 6400000C
	buffer_load_dword v41, v2, s[8:11], 0 idxen                // 000000008960: E0502000 80022902
	v_mfma_f32_16x16x16_bf16 v[148:151], v[58:59], a[36:37], v[148:151]// 000000008968: D3E10094 1652493A
	v_mfma_f32_16x16x16_bf16 v[148:151], v[60:61], a[40:41], v[148:151]// 000000008970: D3E10094 1652513C
	ds_read_b128 a[104:107], v12 offset:2176                   // 000000008978: DBFE0880 6800000C
	buffer_load_dword v42, v3, s[8:11], 0 idxen                // 000000008980: E0502000 80022A03
	v_mfma_f32_16x16x16_bf16 v[148:151], v[62:63], a[44:45], v[148:151]// 000000008988: D3E10094 1652593E
	v_perm_b32 v100, v37, v36, s63                             // 000000008990: D1ED0064 00FE4925
	v_perm_b32 v101, v37, v36, s64                             // 000000008998: D1ED0065 01024925
	v_mfma_f32_16x16x16_bf16 v[148:151], v[64:65], a[48:49], v[148:151]// 0000000089A0: D3E10094 16526140
	ds_read_b128 a[108:111], v12 offset:2688                   // 0000000089A8: DBFE0A80 6C00000C
	buffer_load_dword v43, v4, s[8:11], 0 idxen                // 0000000089B0: E0502000 80022B04
	v_mfma_f32_16x16x16_bf16 v[148:151], v[66:67], a[52:53], v[148:151]// 0000000089B8: D3E10094 16526942
	v_perm_b32 v102, v39, v38, s63                             // 0000000089C0: D1ED0066 00FE4D27
	v_perm_b32 v103, v39, v38, s64                             // 0000000089C8: D1ED0067 01024D27
	v_mfma_f32_16x16x16_bf16 v[148:151], v[68:69], a[56:57], v[148:151]// 0000000089D0: D3E10094 16527144
	ds_read_b128 v[108:111], v12 offset:8704                   // 0000000089D8: D9FE2200 6C00000C
	buffer_load_dword v48, v231, s[20:23], 0 idxen             // 0000000089E0: E0502000 800530E7
	v_mfma_f32_16x16x16_bf16 v[148:151], v[70:71], a[60:61], v[148:151]// 0000000089E8: D3E10094 16527946
	v_perm_b32 v104, v45, v44, s63                             // 0000000089F0: D1ED0068 00FE592D
	v_perm_b32 v105, v45, v44, s64                             // 0000000089F8: D1ED0069 0102592D
	v_mfma_f32_16x16x16_bf16 v[148:151], v[72:73], a[64:65], v[148:151]// 000000008A00: D3E10094 16528148
	ds_read_b128 v[112:115], v12 offset:9216                   // 000000008A08: D9FE2400 7000000C
	buffer_load_dword v49, v232, s[20:23], 0 idxen             // 000000008A10: E0502000 800531E8
	v_mfma_f32_16x16x16_bf16 v[148:151], v[74:75], a[68:69], v[148:151]// 000000008A18: D3E10094 1652894A
	v_perm_b32 v106, v47, v46, s63                             // 000000008A20: D1ED006A 00FE5D2F
	v_perm_b32 v107, v47, v46, s64                             // 000000008A28: D1ED006B 01025D2F
	v_mfma_f32_16x16x16_bf16 v[152:155], v[52:53], a[26:27], 0 // 000000008A30: D3E10098 12023534
	ds_read_b128 v[116:119], v12 offset:10880                  // 000000008A38: D9FE2A80 7400000C
	buffer_load_dword v50, v233, s[20:23], 0 idxen             // 000000008A40: E0502000 800532E9
	v_mfma_f32_16x16x16_bf16 v[152:155], v[54:55], a[30:31], v[152:155]// 000000008A48: D3E10098 16623D36
	v_mov_b32_dpp v143, v140 quad_perm:[3,3,3,3] row_mask:0xf bank_mask:0xf// 000000008A50: 7F1E02FA FF00FF8C
	v_mov_b32_dpp v142, v140 quad_perm:[2,2,2,2] row_mask:0xf bank_mask:0xf// 000000008A58: 7F1C02FA FF00AA8C
	v_mov_b32_dpp v141, v140 quad_perm:[1,1,1,1] row_mask:0xf bank_mask:0xf// 000000008A60: 7F1A02FA FF00558C
	v_mov_b32_dpp v140, v140 quad_perm:[0,0,0,0] row_mask:0xf bank_mask:0xf// 000000008A68: 7F1802FA FF00008C
	v_mfma_f32_16x16x16_bf16 v[152:155], v[56:57], a[34:35], v[152:155]// 000000008A70: D3E10098 16624538
	ds_read_b128 v[120:123], v12 offset:11392                  // 000000008A78: D9FE2C80 7800000C
	buffer_load_dword v51, v234, s[20:23], 0 idxen             // 000000008A80: E0502000 800533EA
	v_mfma_f32_16x16x16_bf16 v[152:155], v[58:59], a[38:39], v[152:155]// 000000008A88: D3E10098 16624D3A
	v_mov_b32_dpp v147, v144 quad_perm:[3,3,3,3] row_mask:0xf bank_mask:0xf// 000000008A90: 7F2602FA FF00FF90
	v_mov_b32_dpp v146, v144 quad_perm:[2,2,2,2] row_mask:0xf bank_mask:0xf// 000000008A98: 7F2402FA FF00AA90
	v_mov_b32_dpp v145, v144 quad_perm:[1,1,1,1] row_mask:0xf bank_mask:0xf// 000000008AA0: 7F2202FA FF005590
	v_mov_b32_dpp v144, v144 quad_perm:[0,0,0,0] row_mask:0xf bank_mask:0xf// 000000008AA8: 7F2002FA FF000090
	s_add_u32 s60, 0x80, s59                                   // 000000008AB0: 803C3BFF 00000080
	v_mfma_f32_16x16x16_bf16 v[152:155], v[60:61], a[42:43], v[152:155]// 000000008AB8: D3E10098 1662553C
	buffer_load_dword v11, s[24:27], 0 idxen lds               // 000000008AC0: E0512000 8006000B
	v_mfma_f32_16x16x16_bf16 v[152:155], v[62:63], a[46:47], v[152:155]// 000000008AC8: D3E10098 16625D3E
	s_cmp_lt_u32 s60, s58                                      // 000000008AD0: BF0A3A3C
	s_cselect_b32 s68, s68, 0                                  // 000000008AD4: 85448044
	s_cselect_b32 s81, s81, 0                                  // 000000008AD8: 85518051
	s_cselect_b32 s69, s69, 0                                  // 000000008ADC: 85458045
	v_mfma_f32_16x16x16_bf16 v[152:155], v[64:65], a[50:51], v[152:155]// 000000008AE0: D3E10098 16626540
	v_add_u32_e32 v1, s68, v1                                  // 000000008AE8: 68020244
	v_add_u32_e32 v2, s68, v2                                  // 000000008AEC: 68040444
	v_add_u32_e32 v3, s68, v3                                  // 000000008AF0: 68060644
	v_add_u32_e32 v4, s68, v4                                  // 000000008AF4: 68080844
	v_mfma_f32_16x16x16_bf16 v[152:155], v[66:67], a[54:55], v[152:155]// 000000008AF8: D3E10098 16626D42
	v_add_u32_e32 v231, s81, v231                              // 000000008B00: 69CFCE51
	v_add_u32_e32 v232, s81, v232                              // 000000008B04: 69D1D051
	v_add_u32_e32 v233, s81, v233                              // 000000008B08: 69D3D251
	v_add_u32_e32 v234, s81, v234                              // 000000008B0C: 69D5D451
	v_mfma_f32_16x16x16_bf16 v[152:155], v[68:69], a[58:59], v[152:155]// 000000008B10: D3E10098 16627544
	s_mov_b32 m0, s76                                          // 000000008B18: BEFC004C
	v_add_u32_e32 v11, s69, v11                                // 000000008B1C: 68161645
	v_mfma_f32_16x16x16_bf16 v[152:155], v[70:71], a[62:63], v[152:155]// 000000008B20: D3E10098 16627D46
	s_cmp_ge_u32 s59, 32                                       // 000000008B28: BF09A03B
	s_cselect_b32 s66, s67, s66                                // 000000008B2C: 85424243
	v_mfma_f32_16x16x16_bf16 v[152:155], v[72:73], a[66:67], v[152:155]// 000000008B30: D3E10098 16628548
	s_addk_i32 s59, 0x20                                       // 000000008B38: B73B0020
	s_nop 0                                                    // 000000008B3C: BF800000
	s_cmp_lt_i32 s59, s58                                      // 000000008B40: BF043A3B
	v_mfma_f32_16x16x16_bf16 v[152:155], v[74:75], a[70:71], v[152:155]// 000000008B44: D3E10098 16628D4A
	s_cbranch_scc0 label_0F02                                  // 000000008B4C: BF84FB9C
	s_waitcnt lgkmcnt(4)                                       // 000000008B50: BF8CC47F
	s_barrier                                                  // 000000008B54: BF8A0000
	v_mfma_f32_16x16x16_bf16 v[52:55], a[96:97], a[0:1], 0     // 000000008B58: D3E10034 1A020160
	v_mul_f32_e32 v148, s47, v148                              // 000000008B60: 0B29282F
	v_mul_f32_e32 v149, s47, v149                              // 000000008B64: 0B2B2A2F
	v_mfma_f32_16x16x16_bf16 v[52:55], a[98:99], a[2:3], v[52:55]// 000000008B68: D3E10034 1CD20562
	ds_write_b32 v13, v44 offset:8704                          // 000000008B70: D81A2200 00002C0D
	ds_write_b32 v13, v45 offset:9760                          // 000000008B78: D81A2620 00002D0D
	v_mfma_f32_16x16x16_bf16 v[52:55], a[100:101], a[4:5], v[52:55]// 000000008B80: D3E10034 1CD20964
	v_mul_f32_e32 v150, s47, v150                              // 000000008B88: 0B2D2C2F
	v_mul_f32_e32 v151, s47, v151                              // 000000008B8C: 0B2F2E2F
	v_mfma_f32_16x16x16_bf16 v[52:55], a[102:103], a[6:7], v[52:55]// 000000008B90: D3E10034 1CD20D66
	ds_write_b32 v13, v46 offset:10880                         // 000000008B98: D81A2A80 00002E0D
	ds_write_b32 v13, v47 offset:11936                         // 000000008BA0: D81A2EA0 00002F0D
	v_mfma_f32_16x16x16_bf16 v[56:59], a[96:97], a[8:9], 0     // 000000008BA8: D3E10038 1A021160
	v_mul_f32_e32 v152, s47, v152                              // 000000008BB0: 0B31302F
	v_mul_f32_e32 v153, s47, v153                              // 000000008BB4: 0B33322F
	v_mfma_f32_16x16x16_bf16 v[56:59], a[98:99], a[10:11], v[56:59]// 000000008BB8: D3E10038 1CE21562
	ds_write_b64 v22, v[148:149] offset:31232                  // 000000008BC0: D89A7A00 00009416
	v_mfma_f32_16x16x16_bf16 v[56:59], a[100:101], a[12:13], v[56:59]// 000000008BC8: D3E10038 1CE21964
	v_mul_f32_e32 v154, s47, v154                              // 000000008BD0: 0B35342F
	v_mul_f32_e32 v155, s47, v155                              // 000000008BD4: 0B37362F
	v_mfma_f32_16x16x16_bf16 v[56:59], a[102:103], a[14:15], v[56:59]// 000000008BD8: D3E10038 1CE21D66
	ds_write_b64 v22, v[150:151] offset:31744                  // 000000008BE0: D89A7C00 00009616
	v_mfma_f32_16x16x16_bf16 v[60:63], a[96:97], a[16:17], 0   // 000000008BE8: D3E1003C 1A022160
	buffer_atomic_add_f32 v160, v8, s[32:35], 0 idxen          // 000000008BF0: E1342000 8008A008
	v_mfma_f32_16x16x16_bf16 v[60:63], a[98:99], a[18:19], v[60:63]// 000000008BF8: D3E1003C 1CF22562
	ds_write_b64 v22, v[152:153] offset:32256                  // 000000008C00: D89A7E00 00009816
	v_mfma_f32_16x16x16_bf16 v[60:63], a[100:101], a[20:21], v[60:63]// 000000008C08: D3E1003C 1CF22964
	v_mfma_f32_16x16x16_bf16 v[60:63], a[102:103], a[22:23], v[60:63]// 000000008C10: D3E1003C 1CF22D66
	ds_write_b64 v22, v[154:155] offset:32768                  // 000000008C18: D89A8000 00009A16
	v_mfma_f32_16x16x16_bf16 v[64:67], a[104:105], a[0:1], 0   // 000000008C20: D3E10040 1A020168
	buffer_atomic_add_f32 v161, v9, s[32:35], 0 idxen          // 000000008C28: E1342000 8008A109
	v_mfma_f32_16x16x16_bf16 v[64:67], a[106:107], a[2:3], v[64:67]// 000000008C30: D3E10040 1D02056A
	ds_read_b128 v[124:127], v14 offset:13056                  // 000000008C38: D9FE3300 7C00000E
	ds_write_b32 v13, v36                                      // 000000008C40: D81A0000 0000240D
	v_mfma_f32_16x16x16_bf16 v[64:67], a[108:109], a[4:5], v[64:67]// 000000008C48: D3E10040 1D02096C
	v_mfma_f32_16x16x16_bf16 v[64:67], a[110:111], a[6:7], v[64:67]// 000000008C50: D3E10040 1D020D6E
	v_mfma_f32_16x16x16_bf16 v[68:71], a[104:105], a[8:9], 0   // 000000008C58: D3E10044 1A021168
	ds_read_b128 v[128:131], v14 offset:13568                  // 000000008C60: D9FE3500 8000000E
	ds_write_b32 v13, v37 offset:1056                          // 000000008C68: D81A0420 0000250D
	v_mfma_f32_16x16x16_bf16 v[68:71], a[106:107], a[10:11], v[68:71]// 000000008C70: D3E10044 1D12156A
	buffer_atomic_add_f32 v162, v8, s[32:35], 0 idxen offset:128// 000000008C78: E1342080 8008A208
	v_mfma_f32_16x16x16_bf16 v[68:71], a[108:109], a[12:13], v[68:71]// 000000008C80: D3E10044 1D12196C
	v_mfma_f32_16x16x16_bf16 v[68:71], a[110:111], a[14:15], v[68:71]// 000000008C88: D3E10044 1D121D6E
	ds_read_b128 v[132:135], v14 offset:15232                  // 000000008C90: D9FE3B80 8400000E
	ds_write_b32 v13, v38 offset:2176                          // 000000008C98: D81A0880 0000260D
	v_mfma_f32_16x16x16_bf16 v[72:75], a[104:105], a[16:17], 0 // 000000008CA0: D3E10048 1A022168
	v_mfma_f32_16x16x16_bf16 v[72:75], a[106:107], a[18:19], v[72:75]// 000000008CA8: D3E10048 1D22256A
	buffer_atomic_add_f32 v163, v9, s[32:35], 0 idxen offset:128// 000000008CB0: E1342080 8008A309
	v_mfma_f32_16x16x16_bf16 v[72:75], a[108:109], a[20:21], v[72:75]// 000000008CB8: D3E10048 1D22296C
	ds_read_b128 v[136:139], v14 offset:15744                  // 000000008CC0: D9FE3D80 8800000E
	ds_write_b32 v13, v39 offset:3232                          // 000000008CC8: D81A0CA0 0000270D
	v_mfma_f32_16x16x16_bf16 v[72:75], a[110:111], a[22:23], v[72:75]// 000000008CD0: D3E10048 1D222D6E
	s_cmp_lt_i32 s83, 0xc0                                     // 000000008CD8: BF04FF53 000000C0
	s_cbranch_scc0 label_144A                                  // 000000008CE0: BF84006D
	s_cmp_le_i32 s83, 64                                       // 000000008CE4: BF05C053
	s_cbranch_scc1 label_13DD                                  // 000000008CE8: BF850007
	s_cmp_le_i32 s83, 0x80                                     // 000000008CEC: BF05FF53 00000080
	s_cbranch_scc1 label_1401                                  // 000000008CF4: BF85001F
	s_cmp_lt_i32 s83, 0xc0                                     // 000000008CF8: BF04FF53 000000C0
	s_cbranch_scc1 label_1425                                  // 000000008D00: BF850040
	s_branch label_144A                                        // 000000008D04: BF820064

0000000000008d08 <label_13DD>:
	s_mov_b32 s60, 0                                           // 000000008D08: BEBC0080
	v_and_b32_e32 v32, 15, v0                                  // 000000008D0C: 2640008F
	v_add_u32_e64 v32, v32, s60                                // 000000008D10: D1340020 00007920
	v_mul_i32_i24_e64 v33, s46, 16                             // 000000008D18: D1060021 0001202E
	v_add_u32_e32 v32, v32, v33                                // 000000008D20: 68404320
	v_cmp_lt_u32_e64 s[60:61], v32, s83                        // 000000008D24: D0C9003C 0000A720
	s_nop 1                                                    // 000000008D2C: BF800001
	v_cndmask_b32_e64 v52, v230, v52, s[60:61]                 // 000000008D30: D1000034 00F269E6
	v_cndmask_b32_e64 v64, v230, v64, s[60:61]                 // 000000008D38: D1000040 00F281E6
	v_cndmask_b32_e64 v53, v230, v53, s[60:61]                 // 000000008D40: D1000035 00F26BE6
	v_cndmask_b32_e64 v65, v230, v65, s[60:61]                 // 000000008D48: D1000041 00F283E6
	v_cndmask_b32_e64 v54, v230, v54, s[60:61]                 // 000000008D50: D1000036 00F26DE6
	v_cndmask_b32_e64 v66, v230, v66, s[60:61]                 // 000000008D58: D1000042 00F285E6
	v_cndmask_b32_e64 v55, v230, v55, s[60:61]                 // 000000008D60: D1000037 00F26FE6
	v_cndmask_b32_e64 v67, v230, v67, s[60:61]                 // 000000008D68: D1000043 00F287E6
	s_branch label_141C                                        // 000000008D70: BF82001B

0000000000008d74 <label_1401>:
	s_mov_b32 s60, 64                                          // 000000008D74: BEBC00C0
	v_and_b32_e32 v32, 15, v0                                  // 000000008D78: 2640008F
	v_add_u32_e64 v32, v32, s60                                // 000000008D7C: D1340020 00007920
	v_mul_i32_i24_e64 v33, s46, 16                             // 000000008D84: D1060021 0001202E
	v_add_u32_e32 v32, v32, v33                                // 000000008D8C: 68404320
	v_cmp_lt_u32_e64 s[60:61], v32, s83                        // 000000008D90: D0C9003C 0000A720
	s_nop 1                                                    // 000000008D98: BF800001
	v_cndmask_b32_e64 v56, v230, v56, s[60:61]                 // 000000008D9C: D1000038 00F271E6
	v_cndmask_b32_e64 v68, v230, v68, s[60:61]                 // 000000008DA4: D1000044 00F289E6
	v_cndmask_b32_e64 v57, v230, v57, s[60:61]                 // 000000008DAC: D1000039 00F273E6
	v_cndmask_b32_e64 v69, v230, v69, s[60:61]                 // 000000008DB4: D1000045 00F28BE6
	v_cndmask_b32_e64 v58, v230, v58, s[60:61]                 // 000000008DBC: D100003A 00F275E6
	v_cndmask_b32_e64 v70, v230, v70, s[60:61]                 // 000000008DC4: D1000046 00F28DE6
	v_cndmask_b32_e64 v59, v230, v59, s[60:61]                 // 000000008DCC: D100003B 00F277E6
	v_cndmask_b32_e64 v71, v230, v71, s[60:61]                 // 000000008DD4: D1000047 00F28FE6
	s_branch label_1441                                        // 000000008DDC: BF820025

0000000000008de0 <label_141C>:
	v_mov_b32_e32 v56, v230                                    // 000000008DE0: 7E7003E6
	v_mov_b32_e32 v68, v230                                    // 000000008DE4: 7E8803E6
	v_mov_b32_e32 v57, v230                                    // 000000008DE8: 7E7203E6
	v_mov_b32_e32 v69, v230                                    // 000000008DEC: 7E8A03E6
	v_mov_b32_e32 v58, v230                                    // 000000008DF0: 7E7403E6
	v_mov_b32_e32 v70, v230                                    // 000000008DF4: 7E8C03E6
	v_mov_b32_e32 v59, v230                                    // 000000008DF8: 7E7603E6
	v_mov_b32_e32 v71, v230                                    // 000000008DFC: 7E8E03E6
	s_branch label_1441                                        // 000000008E00: BF82001C

0000000000008e04 <label_1425>:
	s_mov_b32 s60, 0x80                                        // 000000008E04: BEBC00FF 00000080
	v_and_b32_e32 v32, 15, v0                                  // 000000008E0C: 2640008F
	v_add_u32_e64 v32, v32, s60                                // 000000008E10: D1340020 00007920
	v_mul_i32_i24_e64 v33, s46, 16                             // 000000008E18: D1060021 0001202E
	v_add_u32_e32 v32, v32, v33                                // 000000008E20: 68404320
	v_cmp_lt_u32_e64 s[60:61], v32, s83                        // 000000008E24: D0C9003C 0000A720
	s_nop 1                                                    // 000000008E2C: BF800001
	v_cndmask_b32_e64 v60, v230, v60, s[60:61]                 // 000000008E30: D100003C 00F279E6
	v_cndmask_b32_e64 v72, v230, v72, s[60:61]                 // 000000008E38: D1000048 00F291E6
	v_cndmask_b32_e64 v61, v230, v61, s[60:61]                 // 000000008E40: D100003D 00F27BE6
	v_cndmask_b32_e64 v73, v230, v73, s[60:61]                 // 000000008E48: D1000049 00F293E6
	v_cndmask_b32_e64 v62, v230, v62, s[60:61]                 // 000000008E50: D100003E 00F27DE6
	v_cndmask_b32_e64 v74, v230, v74, s[60:61]                 // 000000008E58: D100004A 00F295E6
	v_cndmask_b32_e64 v63, v230, v63, s[60:61]                 // 000000008E60: D100003F 00F27FE6
	v_cndmask_b32_e64 v75, v230, v75, s[60:61]                 // 000000008E68: D100004B 00F297E6
	s_branch label_144A                                        // 000000008E70: BF820009

0000000000008e74 <label_1441>:
	v_mov_b32_e32 v60, v230                                    // 000000008E74: 7E7803E6
	v_mov_b32_e32 v72, v230                                    // 000000008E78: 7E9003E6
	v_mov_b32_e32 v61, v230                                    // 000000008E7C: 7E7A03E6
	v_mov_b32_e32 v73, v230                                    // 000000008E80: 7E9203E6
	v_mov_b32_e32 v62, v230                                    // 000000008E84: 7E7C03E6
	v_mov_b32_e32 v74, v230                                    // 000000008E88: 7E9403E6
	v_mov_b32_e32 v63, v230                                    // 000000008E8C: 7E7E03E6
	v_mov_b32_e32 v75, v230                                    // 000000008E90: 7E9603E6
	s_branch label_144A                                        // 000000008E94: BF820000

0000000000008e98 <label_144A>:
	s_waitcnt lgkmcnt(8)                                       // 000000008E98: BF8CC87F
	s_barrier                                                  // 000000008E9C: BF8A0000
	v_mfma_f32_16x16x16_bf16 v[76:79], v[108:109], a[72:73], 0 // 000000008EA0: D3E1004C 1202916C
	v_fma_f32 v52, v52, s57, -v140                             // 000000008EA8: D1CB0034 86307334
	v_fma_f32 v53, v53, s57, -v141                             // 000000008EB0: D1CB0035 86347335
	v_fma_f32 v54, v54, s57, -v142                             // 000000008EB8: D1CB0036 86387336
	v_fma_f32 v55, v55, s57, -v143                             // 000000008EC0: D1CB0037 863C7337
	v_fma_f32 v56, v56, s57, -v140                             // 000000008EC8: D1CB0038 86307338
	v_fma_f32 v57, v57, s57, -v141                             // 000000008ED0: D1CB0039 86347339
	v_mfma_f32_16x16x16_bf16 v[76:79], v[110:111], a[74:75], v[76:79]// 000000008ED8: D3E1004C 1532956E
	ds_read_b128 a[96:99], v14 offset:4352                     // 000000008EE0: DBFE1100 6000000E
	ds_read_b128 a[100:103], v14 offset:4864                   // 000000008EE8: DBFE1300 6400000E
	v_mfma_f32_16x16x16_bf16 v[76:79], v[112:113], a[76:77], v[76:79]// 000000008EF0: D3E1004C 15329970
	v_fma_f32 v58, v58, s57, -v142                             // 000000008EF8: D1CB003A 8638733A
	v_fma_f32 v59, v59, s57, -v143                             // 000000008F00: D1CB003B 863C733B
	v_fma_f32 v60, v60, s57, -v140                             // 000000008F08: D1CB003C 8630733C
	v_fma_f32 v61, v61, s57, -v141                             // 000000008F10: D1CB003D 8634733D
	v_fma_f32 v62, v62, s57, -v142                             // 000000008F18: D1CB003E 8638733E
	v_fma_f32 v63, v63, s57, -v143                             // 000000008F20: D1CB003F 863C733F
	v_mfma_f32_16x16x16_bf16 v[76:79], v[114:115], a[78:79], v[76:79]// 000000008F28: D3E1004C 15329D72
	v_fma_f32 v64, v64, s57, -v144                             // 000000008F30: D1CB0040 86407340
	v_fma_f32 v65, v65, s57, -v145                             // 000000008F38: D1CB0041 86447341
	v_fma_f32 v66, v66, s57, -v146                             // 000000008F40: D1CB0042 86487342
	v_fma_f32 v67, v67, s57, -v147                             // 000000008F48: D1CB0043 864C7343
	v_fma_f32 v68, v68, s57, -v144                             // 000000008F50: D1CB0044 86407344
	v_fma_f32 v69, v69, s57, -v145                             // 000000008F58: D1CB0045 86447345
	v_mfma_f32_16x16x16_bf16 v[80:83], v[108:109], a[80:81], 0 // 000000008F60: D3E10050 1202A16C
	v_fma_f32 v70, v70, s57, -v146                             // 000000008F68: D1CB0046 86487346
	v_fma_f32 v71, v71, s57, -v147                             // 000000008F70: D1CB0047 864C7347
	v_fma_f32 v72, v72, s57, -v144                             // 000000008F78: D1CB0048 86407348
	v_fma_f32 v73, v73, s57, -v145                             // 000000008F80: D1CB0049 86447349
	v_fma_f32 v74, v74, s57, -v146                             // 000000008F88: D1CB004A 8648734A
	v_fma_f32 v75, v75, s57, -v147                             // 000000008F90: D1CB004B 864C734B
	v_mfma_f32_16x16x16_bf16 v[80:83], v[110:111], a[82:83], v[80:83]// 000000008F98: D3E10050 1542A56E
	ds_read_b128 a[104:107], v14 offset:6528                   // 000000008FA0: DBFE1980 6800000E
	ds_read_b128 a[108:111], v14 offset:7040                   // 000000008FA8: DBFE1B80 6C00000E
	v_mfma_f32_16x16x16_bf16 v[80:83], v[112:113], a[84:85], v[80:83]// 000000008FB0: D3E10050 1542A970
	v_exp_f32_e32 v52, v52                                     // 000000008FB8: 7E684134
	v_exp_f32_e32 v53, v53                                     // 000000008FBC: 7E6A4135
	v_mfma_f32_16x16x16_bf16 v[80:83], v[114:115], a[86:87], v[80:83]// 000000008FC0: D3E10050 1542AD72
	v_exp_f32_e32 v54, v54                                     // 000000008FC8: 7E6C4136
	v_exp_f32_e32 v55, v55                                     // 000000008FCC: 7E6E4137
	v_mfma_f32_16x16x16_bf16 v[84:87], v[108:109], a[88:89], 0 // 000000008FD0: D3E10054 1202B16C
	v_exp_f32_e32 v56, v56                                     // 000000008FD8: 7E704138
	v_exp_f32_e32 v57, v57                                     // 000000008FDC: 7E724139
	v_mfma_f32_16x16x16_bf16 v[84:87], v[110:111], a[90:91], v[84:87]// 000000008FE0: D3E10054 1552B56E
	ds_read_b64 v[156:157], v21 offset:31232                   // 000000008FE8: D8EC7A00 9C000015
	ds_read_b64 v[158:159], v21 offset:33280                   // 000000008FF0: D8EC8200 9E000015
	v_mfma_f32_16x16x16_bf16 v[84:87], v[112:113], a[92:93], v[84:87]// 000000008FF8: D3E10054 1552B970
	v_exp_f32_e32 v58, v58                                     // 000000009000: 7E74413A
	v_exp_f32_e32 v59, v59                                     // 000000009004: 7E76413B
	v_mfma_f32_16x16x16_bf16 v[84:87], v[114:115], a[94:95], v[84:87]// 000000009008: D3E10054 1552BD72
	ds_read_b64 v[160:161], v21 offset:35328                   // 000000009010: D8EC8A00 A0000015
	ds_read_b64 v[162:163], v21 offset:37376                   // 000000009018: D8EC9200 A2000015
	v_mfma_f32_16x16x16_bf16 v[88:91], v[116:117], a[72:73], 0 // 000000009020: D3E10058 12029174
	v_exp_f32_e32 v60, v60                                     // 000000009028: 7E78413C
	v_exp_f32_e32 v61, v61                                     // 00000000902C: 7E7A413D
	v_mfma_f32_16x16x16_bf16 v[88:91], v[118:119], a[74:75], v[88:91]// 000000009030: D3E10058 15629576
	v_exp_f32_e32 v62, v62                                     // 000000009038: 7E7C413E
	v_exp_f32_e32 v63, v63                                     // 00000000903C: 7E7E413F
	v_mfma_f32_16x16x16_bf16 v[88:91], v[120:121], a[76:77], v[88:91]// 000000009040: D3E10058 15629978
	v_exp_f32_e32 v64, v64                                     // 000000009048: 7E804140
	v_exp_f32_e32 v65, v65                                     // 00000000904C: 7E824141
	v_mfma_f32_16x16x16_bf16 v[88:91], v[122:123], a[78:79], v[88:91]// 000000009050: D3E10058 15629D7A
	v_exp_f32_e32 v66, v66                                     // 000000009058: 7E844142
	v_exp_f32_e32 v67, v67                                     // 00000000905C: 7E864143
	v_mfma_f32_16x16x16_bf16 v[92:95], v[116:117], a[80:81], 0 // 000000009060: D3E1005C 1202A174
	v_exp_f32_e32 v68, v68                                     // 000000009068: 7E884144
	v_exp_f32_e32 v69, v69                                     // 00000000906C: 7E8A4145
	v_mfma_f32_16x16x16_bf16 v[92:95], v[118:119], a[82:83], v[92:95]// 000000009070: D3E1005C 1572A576
	v_exp_f32_e32 v70, v70                                     // 000000009078: 7E8C4146
	v_exp_f32_e32 v71, v71                                     // 00000000907C: 7E8E4147
	v_mfma_f32_16x16x16_bf16 v[92:95], v[120:121], a[84:85], v[92:95]// 000000009080: D3E1005C 1572A978
	v_exp_f32_e32 v72, v72                                     // 000000009088: 7E904148
	v_exp_f32_e32 v73, v73                                     // 00000000908C: 7E924149
	v_mfma_f32_16x16x16_bf16 v[92:95], v[122:123], a[86:87], v[92:95]// 000000009090: D3E1005C 1572AD7A
	v_exp_f32_e32 v74, v74                                     // 000000009098: 7E94414A
	v_exp_f32_e32 v75, v75                                     // 00000000909C: 7E96414B
	v_mfma_f32_16x16x16_bf16 v[96:99], v[116:117], a[88:89], 0 // 0000000090A0: D3E10060 1202B174
	v_cmp_u_f32_e64 s[74:75], v52, v52                         // 0000000090A8: D048004A 00026934
	v_add3_u32 v226, v52, v229, 1                              // 0000000090B0: D1FF00E2 0207CB34
	v_cndmask_b32_e64 v32, v226, v228, s[74:75]                // 0000000090B8: D1000020 012BC9E2
	v_cmp_u_f32_e64 s[74:75], v53, v53                         // 0000000090C0: D048004A 00026B35
	v_add3_u32 v226, v53, v229, 1                              // 0000000090C8: D1FF00E2 0207CB35
	v_cndmask_b32_e64 v33, v226, v228, s[74:75]                // 0000000090D0: D1000021 012BC9E2
	v_perm_b32 v164, v33, v32, s64                             // 0000000090D8: D1ED00A4 01024121
	v_cmp_u_f32_e64 s[74:75], v54, v54                         // 0000000090E0: D048004A 00026D36
	v_add3_u32 v226, v54, v229, 1                              // 0000000090E8: D1FF00E2 0207CB36
	v_cndmask_b32_e64 v32, v226, v228, s[74:75]                // 0000000090F0: D1000020 012BC9E2
	v_cmp_u_f32_e64 s[74:75], v55, v55                         // 0000000090F8: D048004A 00026F37
	v_add3_u32 v226, v55, v229, 1                              // 000000009100: D1FF00E2 0207CB37
	v_cndmask_b32_e64 v33, v226, v228, s[74:75]                // 000000009108: D1000021 012BC9E2
	v_perm_b32 v165, v33, v32, s64                             // 000000009110: D1ED00A5 01024121
	v_cmp_u_f32_e64 s[74:75], v56, v56                         // 000000009118: D048004A 00027138
	v_add3_u32 v226, v56, v229, 1                              // 000000009120: D1FF00E2 0207CB38
	v_cndmask_b32_e64 v32, v226, v228, s[74:75]                // 000000009128: D1000020 012BC9E2
	v_cmp_u_f32_e64 s[74:75], v57, v57                         // 000000009130: D048004A 00027339
	v_add3_u32 v226, v57, v229, 1                              // 000000009138: D1FF00E2 0207CB39
	v_cndmask_b32_e64 v33, v226, v228, s[74:75]                // 000000009140: D1000021 012BC9E2
	v_perm_b32 v166, v33, v32, s64                             // 000000009148: D1ED00A6 01024121
	v_cmp_u_f32_e64 s[74:75], v58, v58                         // 000000009150: D048004A 0002753A
	v_add3_u32 v226, v58, v229, 1                              // 000000009158: D1FF00E2 0207CB3A
	v_cndmask_b32_e64 v32, v226, v228, s[74:75]                // 000000009160: D1000020 012BC9E2
	v_cmp_u_f32_e64 s[74:75], v59, v59                         // 000000009168: D048004A 0002773B
	v_add3_u32 v226, v59, v229, 1                              // 000000009170: D1FF00E2 0207CB3B
	v_cndmask_b32_e64 v33, v226, v228, s[74:75]                // 000000009178: D1000021 012BC9E2
	v_perm_b32 v167, v33, v32, s64                             // 000000009180: D1ED00A7 01024121
	v_cmp_u_f32_e64 s[74:75], v60, v60                         // 000000009188: D048004A 0002793C
	v_add3_u32 v226, v60, v229, 1                              // 000000009190: D1FF00E2 0207CB3C
	v_cndmask_b32_e64 v32, v226, v228, s[74:75]                // 000000009198: D1000020 012BC9E2
	v_cmp_u_f32_e64 s[74:75], v61, v61                         // 0000000091A0: D048004A 00027B3D
	v_add3_u32 v226, v61, v229, 1                              // 0000000091A8: D1FF00E2 0207CB3D
	v_cndmask_b32_e64 v33, v226, v228, s[74:75]                // 0000000091B0: D1000021 012BC9E2
	v_perm_b32 v168, v33, v32, s64                             // 0000000091B8: D1ED00A8 01024121
	v_cmp_u_f32_e64 s[74:75], v62, v62                         // 0000000091C0: D048004A 00027D3E
	v_add3_u32 v226, v62, v229, 1                              // 0000000091C8: D1FF00E2 0207CB3E
	v_cndmask_b32_e64 v32, v226, v228, s[74:75]                // 0000000091D0: D1000020 012BC9E2
	v_cmp_u_f32_e64 s[74:75], v63, v63                         // 0000000091D8: D048004A 00027F3F
	v_add3_u32 v226, v63, v229, 1                              // 0000000091E0: D1FF00E2 0207CB3F
	v_cndmask_b32_e64 v33, v226, v228, s[74:75]                // 0000000091E8: D1000021 012BC9E2
	v_perm_b32 v169, v33, v32, s64                             // 0000000091F0: D1ED00A9 01024121
	v_mfma_f32_16x16x16_bf16 v[96:99], v[118:119], a[90:91], v[96:99]// 0000000091F8: D3E10060 1582B576
	v_cmp_u_f32_e64 s[74:75], v64, v64                         // 000000009200: D048004A 00028140
	v_add3_u32 v226, v64, v229, 1                              // 000000009208: D1FF00E2 0207CB40
	v_cndmask_b32_e64 v32, v226, v228, s[74:75]                // 000000009210: D1000020 012BC9E2
	v_cmp_u_f32_e64 s[74:75], v65, v65                         // 000000009218: D048004A 00028341
	v_add3_u32 v226, v65, v229, 1                              // 000000009220: D1FF00E2 0207CB41
	v_cndmask_b32_e64 v33, v226, v228, s[74:75]                // 000000009228: D1000021 012BC9E2
	v_perm_b32 v170, v33, v32, s64                             // 000000009230: D1ED00AA 01024121
	v_cmp_u_f32_e64 s[74:75], v66, v66                         // 000000009238: D048004A 00028542
	v_add3_u32 v226, v66, v229, 1                              // 000000009240: D1FF00E2 0207CB42
	v_cndmask_b32_e64 v32, v226, v228, s[74:75]                // 000000009248: D1000020 012BC9E2
	v_cmp_u_f32_e64 s[74:75], v67, v67                         // 000000009250: D048004A 00028743
	v_add3_u32 v226, v67, v229, 1                              // 000000009258: D1FF00E2 0207CB43
	v_cndmask_b32_e64 v33, v226, v228, s[74:75]                // 000000009260: D1000021 012BC9E2
	v_perm_b32 v171, v33, v32, s64                             // 000000009268: D1ED00AB 01024121
	v_cmp_u_f32_e64 s[74:75], v68, v68                         // 000000009270: D048004A 00028944
	v_add3_u32 v226, v68, v229, 1                              // 000000009278: D1FF00E2 0207CB44
	v_cndmask_b32_e64 v32, v226, v228, s[74:75]                // 000000009280: D1000020 012BC9E2
	v_cmp_u_f32_e64 s[74:75], v69, v69                         // 000000009288: D048004A 00028B45
	v_add3_u32 v226, v69, v229, 1                              // 000000009290: D1FF00E2 0207CB45
	v_cndmask_b32_e64 v33, v226, v228, s[74:75]                // 000000009298: D1000021 012BC9E2
	v_perm_b32 v172, v33, v32, s64                             // 0000000092A0: D1ED00AC 01024121
	v_cmp_u_f32_e64 s[74:75], v70, v70                         // 0000000092A8: D048004A 00028D46
	v_add3_u32 v226, v70, v229, 1                              // 0000000092B0: D1FF00E2 0207CB46
	v_cndmask_b32_e64 v32, v226, v228, s[74:75]                // 0000000092B8: D1000020 012BC9E2
	v_cmp_u_f32_e64 s[74:75], v71, v71                         // 0000000092C0: D048004A 00028F47
	v_add3_u32 v226, v71, v229, 1                              // 0000000092C8: D1FF00E2 0207CB47
	v_cndmask_b32_e64 v33, v226, v228, s[74:75]                // 0000000092D0: D1000021 012BC9E2
	v_perm_b32 v173, v33, v32, s64                             // 0000000092D8: D1ED00AD 01024121
	v_cmp_u_f32_e64 s[74:75], v72, v72                         // 0000000092E0: D048004A 00029148
	v_add3_u32 v226, v72, v229, 1                              // 0000000092E8: D1FF00E2 0207CB48
	v_cndmask_b32_e64 v32, v226, v228, s[74:75]                // 0000000092F0: D1000020 012BC9E2
	v_cmp_u_f32_e64 s[74:75], v73, v73                         // 0000000092F8: D048004A 00029349
	v_add3_u32 v226, v73, v229, 1                              // 000000009300: D1FF00E2 0207CB49
	v_cndmask_b32_e64 v33, v226, v228, s[74:75]                // 000000009308: D1000021 012BC9E2
	v_perm_b32 v174, v33, v32, s64                             // 000000009310: D1ED00AE 01024121
	v_cmp_u_f32_e64 s[74:75], v74, v74                         // 000000009318: D048004A 0002954A
	v_add3_u32 v226, v74, v229, 1                              // 000000009320: D1FF00E2 0207CB4A
	v_cndmask_b32_e64 v32, v226, v228, s[74:75]                // 000000009328: D1000020 012BC9E2
	v_cmp_u_f32_e64 s[74:75], v75, v75                         // 000000009330: D048004A 0002974B
	v_add3_u32 v226, v75, v229, 1                              // 000000009338: D1FF00E2 0207CB4B
	v_cndmask_b32_e64 v33, v226, v228, s[74:75]                // 000000009340: D1000021 012BC9E2
	v_perm_b32 v175, v33, v32, s64                             // 000000009348: D1ED00AF 01024121
	v_mfma_f32_16x16x16_bf16 v[96:99], v[120:121], a[92:93], v[96:99]// 000000009350: D3E10060 1582B978
	v_add_u32_e32 v6, s66, v6                                  // 000000009358: 680C0C42
	v_add_u32_e32 v7, s66, v7                                  // 00000000935C: 680E0E42
	v_add_u32_e32 v8, s66, v8                                  // 000000009360: 68101042
	v_add_u32_e32 v9, s66, v9                                  // 000000009364: 68121242
	v_mfma_f32_16x16x16_bf16 v[96:99], v[122:123], a[94:95], v[96:99]// 000000009368: D3E10060 1582BD7A
	s_waitcnt lgkmcnt(0)                                       // 000000009370: BF8CC07F
	s_barrier                                                  // 000000009374: BF8A0000
	v_mfma_f32_16x16x16_bf16 v[178:181], v[124:125], v[164:165], v[178:181]// 000000009378: D3E100B2 06CB497C
	v_subrev_f32_dpp v76, v176, v76 quad_perm:[0,0,0,0] row_mask:0xf bank_mask:0xf// 000000009380: 069898FA FF0000B0
	v_subrev_f32_dpp v77, v176, v77 quad_perm:[1,1,1,1] row_mask:0xf bank_mask:0xf// 000000009388: 069A9AFA FF0055B0
	v_subrev_f32_dpp v78, v176, v78 quad_perm:[2,2,2,2] row_mask:0xf bank_mask:0xf// 000000009390: 069C9CFA FF00AAB0
	v_subrev_f32_dpp v79, v176, v79 quad_perm:[3,3,3,3] row_mask:0xf bank_mask:0xf// 000000009398: 069E9EFA FF00FFB0
	v_subrev_f32_dpp v80, v176, v80 quad_perm:[0,0,0,0] row_mask:0xf bank_mask:0xf// 0000000093A0: 06A0A0FA FF0000B0
	v_subrev_f32_dpp v81, v176, v81 quad_perm:[1,1,1,1] row_mask:0xf bank_mask:0xf// 0000000093A8: 06A2A2FA FF0055B0
	v_mfma_f32_16x16x16_bf16 v[182:185], v[126:127], v[164:165], v[182:185]// 0000000093B0: D3E100B6 06DB497E
	v_subrev_f32_dpp v82, v176, v82 quad_perm:[2,2,2,2] row_mask:0xf bank_mask:0xf// 0000000093B8: 06A4A4FA FF00AAB0
	v_subrev_f32_dpp v83, v176, v83 quad_perm:[3,3,3,3] row_mask:0xf bank_mask:0xf// 0000000093C0: 06A6A6FA FF00FFB0
	v_subrev_f32_dpp v84, v176, v84 quad_perm:[0,0,0,0] row_mask:0xf bank_mask:0xf// 0000000093C8: 06A8A8FA FF0000B0
	v_subrev_f32_dpp v85, v176, v85 quad_perm:[1,1,1,1] row_mask:0xf bank_mask:0xf// 0000000093D0: 06AAAAFA FF0055B0
	v_subrev_f32_dpp v86, v176, v86 quad_perm:[2,2,2,2] row_mask:0xf bank_mask:0xf// 0000000093D8: 06ACACFA FF00AAB0
	v_subrev_f32_dpp v87, v176, v87 quad_perm:[3,3,3,3] row_mask:0xf bank_mask:0xf// 0000000093E0: 06AEAEFA FF00FFB0
	v_mfma_f32_16x16x16_bf16 v[186:189], v[128:129], v[164:165], v[186:189]// 0000000093E8: D3E100BA 06EB4980
	v_mul_f32_e32 v76, v52, v76                                // 0000000093F0: 0A989934
	v_mul_f32_e32 v77, v53, v77                                // 0000000093F4: 0A9A9B35
	v_mul_f32_e32 v78, v54, v78                                // 0000000093F8: 0A9C9D36
	v_mul_f32_e32 v79, v55, v79                                // 0000000093FC: 0A9E9F37
	v_mul_f32_e32 v80, v56, v80                                // 000000009400: 0AA0A138
	v_mul_f32_e32 v81, v57, v81                                // 000000009404: 0AA2A339
	v_mfma_f32_16x16x16_bf16 v[190:193], v[130:131], v[164:165], v[190:193]// 000000009408: D3E100BE 06FB4982
	v_mul_f32_e32 v82, v58, v82                                // 000000009410: 0AA4A53A
	v_mul_f32_e32 v83, v59, v83                                // 000000009414: 0AA6A73B
	v_mul_f32_e32 v84, v60, v84                                // 000000009418: 0AA8A93C
	v_mul_f32_e32 v85, v61, v85                                // 00000000941C: 0AAAAB3D
	v_mul_f32_e32 v86, v62, v86                                // 000000009420: 0AACAD3E
	v_mul_f32_e32 v87, v63, v87                                // 000000009424: 0AAEAF3F
	v_mfma_f32_16x16x16_bf16 v[194:197], v[124:125], v[166:167], v[194:197]// 000000009428: D3E100C2 070B4D7C
	v_cmp_u_f32_e64 s[74:75], v76, v76                         // 000000009430: D048004A 0002994C
	v_add3_u32 v226, v76, v229, 1                              // 000000009438: D1FF00E2 0207CB4C
	v_cndmask_b32_e64 v32, v226, v228, s[74:75]                // 000000009440: D1000020 012BC9E2
	v_cmp_u_f32_e64 s[74:75], v77, v77                         // 000000009448: D048004A 00029B4D
	v_add3_u32 v226, v77, v229, 1                              // 000000009450: D1FF00E2 0207CB4D
	v_cndmask_b32_e64 v33, v226, v228, s[74:75]                // 000000009458: D1000021 012BC9E2
	v_perm_b32 v76, v33, v32, s64                              // 000000009460: D1ED004C 01024121
	v_cmp_u_f32_e64 s[74:75], v78, v78                         // 000000009468: D048004A 00029D4E
	v_add3_u32 v226, v78, v229, 1                              // 000000009470: D1FF00E2 0207CB4E
	v_cndmask_b32_e64 v32, v226, v228, s[74:75]                // 000000009478: D1000020 012BC9E2
	v_cmp_u_f32_e64 s[74:75], v79, v79                         // 000000009480: D048004A 00029F4F
	v_add3_u32 v226, v79, v229, 1                              // 000000009488: D1FF00E2 0207CB4F
	v_cndmask_b32_e64 v33, v226, v228, s[74:75]                // 000000009490: D1000021 012BC9E2
	v_perm_b32 v77, v33, v32, s64                              // 000000009498: D1ED004D 01024121
	v_cmp_u_f32_e64 s[74:75], v80, v80                         // 0000000094A0: D048004A 0002A150
	v_add3_u32 v226, v80, v229, 1                              // 0000000094A8: D1FF00E2 0207CB50
	v_cndmask_b32_e64 v32, v226, v228, s[74:75]                // 0000000094B0: D1000020 012BC9E2
	v_cmp_u_f32_e64 s[74:75], v81, v81                         // 0000000094B8: D048004A 0002A351
	v_add3_u32 v226, v81, v229, 1                              // 0000000094C0: D1FF00E2 0207CB51
	v_cndmask_b32_e64 v33, v226, v228, s[74:75]                // 0000000094C8: D1000021 012BC9E2
	v_perm_b32 v78, v33, v32, s64                              // 0000000094D0: D1ED004E 01024121
	v_cmp_u_f32_e64 s[74:75], v82, v82                         // 0000000094D8: D048004A 0002A552
	v_add3_u32 v226, v82, v229, 1                              // 0000000094E0: D1FF00E2 0207CB52
	v_cndmask_b32_e64 v32, v226, v228, s[74:75]                // 0000000094E8: D1000020 012BC9E2
	v_cmp_u_f32_e64 s[74:75], v83, v83                         // 0000000094F0: D048004A 0002A753
	v_add3_u32 v226, v83, v229, 1                              // 0000000094F8: D1FF00E2 0207CB53
	v_cndmask_b32_e64 v33, v226, v228, s[74:75]                // 000000009500: D1000021 012BC9E2
	v_perm_b32 v79, v33, v32, s64                              // 000000009508: D1ED004F 01024121
	v_cmp_u_f32_e64 s[74:75], v84, v84                         // 000000009510: D048004A 0002A954
	v_add3_u32 v226, v84, v229, 1                              // 000000009518: D1FF00E2 0207CB54
	v_cndmask_b32_e64 v32, v226, v228, s[74:75]                // 000000009520: D1000020 012BC9E2
	v_cmp_u_f32_e64 s[74:75], v85, v85                         // 000000009528: D048004A 0002AB55
	v_add3_u32 v226, v85, v229, 1                              // 000000009530: D1FF00E2 0207CB55
	v_cndmask_b32_e64 v33, v226, v228, s[74:75]                // 000000009538: D1000021 012BC9E2
	v_perm_b32 v80, v33, v32, s64                              // 000000009540: D1ED0050 01024121
	v_cmp_u_f32_e64 s[74:75], v86, v86                         // 000000009548: D048004A 0002AD56
	v_add3_u32 v226, v86, v229, 1                              // 000000009550: D1FF00E2 0207CB56
	v_cndmask_b32_e64 v32, v226, v228, s[74:75]                // 000000009558: D1000020 012BC9E2
	v_cmp_u_f32_e64 s[74:75], v87, v87                         // 000000009560: D048004A 0002AF57
	v_add3_u32 v226, v87, v229, 1                              // 000000009568: D1FF00E2 0207CB57
	v_cndmask_b32_e64 v33, v226, v228, s[74:75]                // 000000009570: D1000021 012BC9E2
	v_perm_b32 v81, v33, v32, s64                              // 000000009578: D1ED0051 01024121
	v_mfma_f32_16x16x16_bf16 v[198:201], v[126:127], v[166:167], v[198:201]// 000000009580: D3E100C6 071B4D7E
	v_mov_b32_dpp v18, v76 quad_perm:[1,0,3,2] row_mask:0xf bank_mask:0xf// 000000009588: 7E2402FA FF00B14C
	v_perm_b32 v52, v18, v76, v17                              // 000000009590: D1ED0034 04469912
	v_mov_b32_dpp v18, v77 quad_perm:[1,0,3,2] row_mask:0xf bank_mask:0xf// 000000009598: 7E2402FA FF00B14D
	v_perm_b32 v53, v18, v77, v17                              // 0000000095A0: D1ED0035 04469B12
	v_mov_b32_dpp v18, v78 quad_perm:[1,0,3,2] row_mask:0xf bank_mask:0xf// 0000000095A8: 7E2402FA FF00B14E
	v_perm_b32 v54, v18, v78, v17                              // 0000000095B0: D1ED0036 04469D12
	v_mfma_f32_16x16x16_bf16 v[202:205], v[128:129], v[166:167], v[202:205]// 0000000095B8: D3E100CA 072B4D80
	ds_write_b32 v20, v52 offset:17408                         // 0000000095C0: D81A4400 00003414
	ds_write_b32 v20, v53 offset:17952                         // 0000000095C8: D81A4620 00003514
	v_mfma_f32_16x16x16_bf16 v[206:209], v[130:131], v[166:167], v[206:209]// 0000000095D0: D3E100CE 073B4D82
	v_mov_b32_dpp v18, v79 quad_perm:[1,0,3,2] row_mask:0xf bank_mask:0xf// 0000000095D8: 7E2402FA FF00B14F
	v_perm_b32 v55, v18, v79, v17                              // 0000000095E0: D1ED0037 04469F12
	v_mov_b32_dpp v18, v80 quad_perm:[1,0,3,2] row_mask:0xf bank_mask:0xf// 0000000095E8: 7E2402FA FF00B150
	v_perm_b32 v56, v18, v80, v17                              // 0000000095F0: D1ED0038 0446A112
	v_mov_b32_dpp v18, v81 quad_perm:[1,0,3,2] row_mask:0xf bank_mask:0xf// 0000000095F8: 7E2402FA FF00B151
	v_perm_b32 v57, v18, v81, v17                              // 000000009600: D1ED0039 0446A312
	v_mfma_f32_16x16x16_bf16 v[210:213], v[124:125], v[168:169], v[210:213]// 000000009608: D3E100D2 074B517C
	ds_write_b32 v20, v54 offset:19712                         // 000000009610: D81A4D00 00003614
	ds_write_b32 v20, v55 offset:20256                         // 000000009618: D81A4F20 00003714
	v_mfma_f32_16x16x16_bf16 v[214:217], v[126:127], v[168:169], v[214:217]// 000000009620: D3E100D6 075B517E
	v_subrev_f32_dpp v88, v177, v88 quad_perm:[0,0,0,0] row_mask:0xf bank_mask:0xf// 000000009628: 06B0B0FA FF0000B1
	v_subrev_f32_dpp v89, v177, v89 quad_perm:[1,1,1,1] row_mask:0xf bank_mask:0xf// 000000009630: 06B2B2FA FF0055B1
	v_subrev_f32_dpp v90, v177, v90 quad_perm:[2,2,2,2] row_mask:0xf bank_mask:0xf// 000000009638: 06B4B4FA FF00AAB1
	v_subrev_f32_dpp v91, v177, v91 quad_perm:[3,3,3,3] row_mask:0xf bank_mask:0xf// 000000009640: 06B6B6FA FF00FFB1
	v_subrev_f32_dpp v92, v177, v92 quad_perm:[0,0,0,0] row_mask:0xf bank_mask:0xf// 000000009648: 06B8B8FA FF0000B1
	v_subrev_f32_dpp v93, v177, v93 quad_perm:[1,1,1,1] row_mask:0xf bank_mask:0xf// 000000009650: 06BABAFA FF0055B1
	v_mfma_f32_16x16x16_bf16 v[218:221], v[128:129], v[168:169], v[218:221]// 000000009658: D3E100DA 076B5180
	ds_write_b32 v20, v56 offset:22016                         // 000000009660: D81A5600 00003814
	ds_write_b32 v20, v57 offset:22560                         // 000000009668: D81A5820 00003914
	v_mfma_f32_16x16x16_bf16 v[222:225], v[130:131], v[168:169], v[222:225]// 000000009670: D3E100DE 077B5182
	v_subrev_f32_dpp v94, v177, v94 quad_perm:[2,2,2,2] row_mask:0xf bank_mask:0xf// 000000009678: 06BCBCFA FF00AAB1
	v_subrev_f32_dpp v95, v177, v95 quad_perm:[3,3,3,3] row_mask:0xf bank_mask:0xf// 000000009680: 06BEBEFA FF00FFB1
	v_subrev_f32_dpp v96, v177, v96 quad_perm:[0,0,0,0] row_mask:0xf bank_mask:0xf// 000000009688: 06C0C0FA FF0000B1
	v_subrev_f32_dpp v97, v177, v97 quad_perm:[1,1,1,1] row_mask:0xf bank_mask:0xf// 000000009690: 06C2C2FA FF0055B1
	v_subrev_f32_dpp v98, v177, v98 quad_perm:[2,2,2,2] row_mask:0xf bank_mask:0xf// 000000009698: 06C4C4FA FF00AAB1
	v_subrev_f32_dpp v99, v177, v99 quad_perm:[3,3,3,3] row_mask:0xf bank_mask:0xf// 0000000096A0: 06C6C6FA FF00FFB1
	v_mfma_f32_16x16x16_bf16 v[178:181], v[132:133], v[170:171], v[178:181]// 0000000096A8: D3E100B2 06CB5584
	v_mul_f32_e32 v88, v64, v88                                // 0000000096B0: 0AB0B140
	v_mul_f32_e32 v89, v65, v89                                // 0000000096B4: 0AB2B341
	v_mul_f32_e32 v90, v66, v90                                // 0000000096B8: 0AB4B542
	v_mul_f32_e32 v91, v67, v91                                // 0000000096BC: 0AB6B743
	v_mul_f32_e32 v92, v68, v92                                // 0000000096C0: 0AB8B944
	v_mul_f32_e32 v93, v69, v93                                // 0000000096C4: 0ABABB45
	v_mfma_f32_16x16x16_bf16 v[182:185], v[134:135], v[170:171], v[182:185]// 0000000096C8: D3E100B6 06DB5586
	v_mul_f32_e32 v94, v70, v94                                // 0000000096D0: 0ABCBD46
	v_mul_f32_e32 v95, v71, v95                                // 0000000096D4: 0ABEBF47
	v_mul_f32_e32 v96, v72, v96                                // 0000000096D8: 0AC0C148
	v_mul_f32_e32 v97, v73, v97                                // 0000000096DC: 0AC2C349
	v_mul_f32_e32 v98, v74, v98                                // 0000000096E0: 0AC4C54A
	v_mul_f32_e32 v99, v75, v99                                // 0000000096E4: 0AC6C74B
	v_mfma_f32_16x16x16_bf16 v[186:189], v[136:137], v[170:171], v[186:189]// 0000000096E8: D3E100BA 06EB5588
	v_cmp_u_f32_e64 s[74:75], v88, v88                         // 0000000096F0: D048004A 0002B158
	v_add3_u32 v226, v88, v229, 1                              // 0000000096F8: D1FF00E2 0207CB58
	v_cndmask_b32_e64 v32, v226, v228, s[74:75]                // 000000009700: D1000020 012BC9E2
	v_cmp_u_f32_e64 s[74:75], v89, v89                         // 000000009708: D048004A 0002B359
	v_add3_u32 v226, v89, v229, 1                              // 000000009710: D1FF00E2 0207CB59
	v_cndmask_b32_e64 v33, v226, v228, s[74:75]                // 000000009718: D1000021 012BC9E2
	v_perm_b32 v82, v33, v32, s64                              // 000000009720: D1ED0052 01024121
	v_cmp_u_f32_e64 s[74:75], v90, v90                         // 000000009728: D048004A 0002B55A
	v_add3_u32 v226, v90, v229, 1                              // 000000009730: D1FF00E2 0207CB5A
	v_cndmask_b32_e64 v32, v226, v228, s[74:75]                // 000000009738: D1000020 012BC9E2
	v_cmp_u_f32_e64 s[74:75], v91, v91                         // 000000009740: D048004A 0002B75B
	v_add3_u32 v226, v91, v229, 1                              // 000000009748: D1FF00E2 0207CB5B
	v_cndmask_b32_e64 v33, v226, v228, s[74:75]                // 000000009750: D1000021 012BC9E2
	v_perm_b32 v83, v33, v32, s64                              // 000000009758: D1ED0053 01024121
	v_cmp_u_f32_e64 s[74:75], v92, v92                         // 000000009760: D048004A 0002B95C
	v_add3_u32 v226, v92, v229, 1                              // 000000009768: D1FF00E2 0207CB5C
	v_cndmask_b32_e64 v32, v226, v228, s[74:75]                // 000000009770: D1000020 012BC9E2
	v_cmp_u_f32_e64 s[74:75], v93, v93                         // 000000009778: D048004A 0002BB5D
	v_add3_u32 v226, v93, v229, 1                              // 000000009780: D1FF00E2 0207CB5D
	v_cndmask_b32_e64 v33, v226, v228, s[74:75]                // 000000009788: D1000021 012BC9E2
	v_perm_b32 v84, v33, v32, s64                              // 000000009790: D1ED0054 01024121
	v_cmp_u_f32_e64 s[74:75], v94, v94                         // 000000009798: D048004A 0002BD5E
	v_add3_u32 v226, v94, v229, 1                              // 0000000097A0: D1FF00E2 0207CB5E
	v_cndmask_b32_e64 v32, v226, v228, s[74:75]                // 0000000097A8: D1000020 012BC9E2
	v_cmp_u_f32_e64 s[74:75], v95, v95                         // 0000000097B0: D048004A 0002BF5F
	v_add3_u32 v226, v95, v229, 1                              // 0000000097B8: D1FF00E2 0207CB5F
	v_cndmask_b32_e64 v33, v226, v228, s[74:75]                // 0000000097C0: D1000021 012BC9E2
	v_perm_b32 v85, v33, v32, s64                              // 0000000097C8: D1ED0055 01024121
	v_cmp_u_f32_e64 s[74:75], v96, v96                         // 0000000097D0: D048004A 0002C160
	v_add3_u32 v226, v96, v229, 1                              // 0000000097D8: D1FF00E2 0207CB60
	v_cndmask_b32_e64 v32, v226, v228, s[74:75]                // 0000000097E0: D1000020 012BC9E2
	v_cmp_u_f32_e64 s[74:75], v97, v97                         // 0000000097E8: D048004A 0002C361
	v_add3_u32 v226, v97, v229, 1                              // 0000000097F0: D1FF00E2 0207CB61
	v_cndmask_b32_e64 v33, v226, v228, s[74:75]                // 0000000097F8: D1000021 012BC9E2
	v_perm_b32 v86, v33, v32, s64                              // 000000009800: D1ED0056 01024121
	v_cmp_u_f32_e64 s[74:75], v98, v98                         // 000000009808: D048004A 0002C562
	v_add3_u32 v226, v98, v229, 1                              // 000000009810: D1FF00E2 0207CB62
	v_cndmask_b32_e64 v32, v226, v228, s[74:75]                // 000000009818: D1000020 012BC9E2
	v_cmp_u_f32_e64 s[74:75], v99, v99                         // 000000009820: D048004A 0002C763
	v_add3_u32 v226, v99, v229, 1                              // 000000009828: D1FF00E2 0207CB63
	v_cndmask_b32_e64 v33, v226, v228, s[74:75]                // 000000009830: D1000021 012BC9E2
	v_perm_b32 v87, v33, v32, s64                              // 000000009838: D1ED0057 01024121
	v_mfma_f32_16x16x16_bf16 v[190:193], v[138:139], v[170:171], v[190:193]// 000000009840: D3E100BE 06FB558A
	v_mov_b32_dpp v18, v82 quad_perm:[1,0,3,2] row_mask:0xf bank_mask:0xf// 000000009848: 7E2402FA FF00B152
	v_perm_b32 v58, v18, v82, v17                              // 000000009850: D1ED003A 0446A512
	v_mov_b32_dpp v18, v83 quad_perm:[1,0,3,2] row_mask:0xf bank_mask:0xf// 000000009858: 7E2402FA FF00B153
	v_perm_b32 v59, v18, v83, v17                              // 000000009860: D1ED003B 0446A712
	v_mov_b32_dpp v18, v84 quad_perm:[1,0,3,2] row_mask:0xf bank_mask:0xf// 000000009868: 7E2402FA FF00B154
	v_perm_b32 v60, v18, v84, v17                              // 000000009870: D1ED003C 0446A912
	v_mfma_f32_16x16x16_bf16 v[194:197], v[132:133], v[172:173], v[194:197]// 000000009878: D3E100C2 070B5984
	ds_write_b32 v20, v58 offset:24320                         // 000000009880: D81A5F00 00003A14
	ds_write_b32 v20, v59 offset:24864                         // 000000009888: D81A6120 00003B14
	v_mfma_f32_16x16x16_bf16 v[198:201], v[134:135], v[172:173], v[198:201]// 000000009890: D3E100C6 071B5986
	v_mov_b32_dpp v18, v85 quad_perm:[1,0,3,2] row_mask:0xf bank_mask:0xf// 000000009898: 7E2402FA FF00B155
	v_perm_b32 v61, v18, v85, v17                              // 0000000098A0: D1ED003D 0446AB12
	v_mov_b32_dpp v18, v86 quad_perm:[1,0,3,2] row_mask:0xf bank_mask:0xf// 0000000098A8: 7E2402FA FF00B156
	v_perm_b32 v62, v18, v86, v17                              // 0000000098B0: D1ED003E 0446AD12
	v_mov_b32_dpp v18, v87 quad_perm:[1,0,3,2] row_mask:0xf bank_mask:0xf// 0000000098B8: 7E2402FA FF00B157
	v_perm_b32 v63, v18, v87, v17                              // 0000000098C0: D1ED003F 0446AF12
	v_mfma_f32_16x16x16_bf16 v[202:205], v[136:137], v[172:173], v[202:205]// 0000000098C8: D3E100CA 072B5988
	ds_write_b32 v20, v60 offset:26624                         // 0000000098D0: D81A6800 00003C14
	ds_write_b32 v20, v61 offset:27168                         // 0000000098D8: D81A6A20 00003D14
	ds_write_b32 v20, v62 offset:28928                         // 0000000098E0: D81A7100 00003E14
	ds_write_b32 v20, v63 offset:29472                         // 0000000098E8: D81A7320 00003F14
	v_mfma_f32_16x16x16_bf16 v[206:209], v[138:139], v[172:173], v[206:209]// 0000000098F0: D3E100CE 073B598A
	v_mfma_f32_16x16x16_bf16 v[210:213], v[132:133], v[174:175], v[210:213]// 0000000098F8: D3E100D2 074B5D84
	ds_write_b32 v15, v100 offset:4352                         // 000000009900: D81A1100 0000640F
	ds_write_b32 v15, v101 offset:5408                         // 000000009908: D81A1520 0000650F
	v_mfma_f32_16x16x16_bf16 v[214:217], v[134:135], v[174:175], v[214:217]// 000000009910: D3E100D6 075B5D86
	v_mfma_f32_16x16x16_bf16 v[218:221], v[136:137], v[174:175], v[218:221]// 000000009918: D3E100DA 076B5D88
	ds_write_b32 v15, v102 offset:6528                         // 000000009920: D81A1980 0000660F
	ds_write_b32 v15, v103 offset:7584                         // 000000009928: D81A1DA0 0000670F
	v_mfma_f32_16x16x16_bf16 v[222:225], v[138:139], v[174:175], v[222:225]// 000000009930: D3E100DE 077B5D8A
	s_nop 0                                                    // 000000009938: BF800000
	s_nop 0                                                    // 00000000993C: BF800000
	s_nop 0                                                    // 000000009940: BF800000
	s_barrier                                                  // 000000009944: BF8A0000
	v_mfma_f32_16x16x16_bf16 a[112:115], a[96:97], v[76:77], a[112:115]// 000000009948: D3E18070 0DC29960
	ds_read_b32 v140, v23 offset:39424                         // 000000009950: D86C9A00 8C000017
	ds_read_b32 v144, v23 offset:39488                         // 000000009958: D86C9A40 90000017
	ds_read_b32 v176, v23 offset:39680                         // 000000009960: D86C9B00 B0000017
	ds_read_b32 v177, v23 offset:39744                         // 000000009968: D86C9B40 B1000017
	v_mfma_f32_16x16x16_bf16 a[116:119], a[98:99], v[76:77], a[116:119]// 000000009970: D3E18074 0DD29962
	buffer_atomic_add_f32 v156, v6, s[32:35], 0 idxen          // 000000009978: E1342000 80089C06
	v_mfma_f32_16x16x16_bf16 a[120:123], a[100:101], v[76:77], a[120:123]// 000000009980: D3E18078 0DE29964
	s_waitcnt lgkmcnt(8)                                       // 000000009988: BF8CC87F
	s_barrier                                                  // 00000000998C: BF8A0000
	v_mfma_f32_16x16x16_bf16 a[124:127], a[102:103], v[76:77], a[124:127]// 000000009990: D3E1807C 0DF29966
	v_mfma_f32_16x16x16_bf16 a[128:131], a[96:97], v[78:79], a[128:131]// 000000009998: D3E18080 0E029D60
	ds_read_b128 v[52:55], v19 offset:17408                    // 0000000099A0: D9FE4400 34000013
	v_mfma_f32_16x16x16_bf16 a[132:135], a[98:99], v[78:79], a[132:135]// 0000000099A8: D3E18084 0E129D62
	v_mfma_f32_16x16x16_bf16 a[136:139], a[100:101], v[78:79], a[136:139]// 0000000099B0: D3E18088 0E229D64
	ds_read_b128 v[56:59], v19 offset:18560                    // 0000000099B8: D9FE4880 38000013
	v_mfma_f32_16x16x16_bf16 a[140:143], a[102:103], v[78:79], a[140:143]// 0000000099C0: D3E1808C 0E329D66
	buffer_atomic_add_f32 v157, v7, s[32:35], 0 idxen          // 0000000099C8: E1342000 80089D07
	v_mfma_f32_16x16x16_bf16 a[144:147], a[96:97], v[80:81], a[144:147]// 0000000099D0: D3E18090 0E42A160
	ds_read_b128 v[60:63], v19 offset:19712                    // 0000000099D8: D9FE4D00 3C000013
	v_mfma_f32_16x16x16_bf16 a[148:151], a[98:99], v[80:81], a[148:151]// 0000000099E0: D3E18094 0E52A162
	v_mfma_f32_16x16x16_bf16 a[152:155], a[100:101], v[80:81], a[152:155]// 0000000099E8: D3E18098 0E62A164
	ds_read_b128 v[64:67], v19 offset:20864                    // 0000000099F0: D9FE5180 40000013
	v_mfma_f32_16x16x16_bf16 a[156:159], a[102:103], v[80:81], a[156:159]// 0000000099F8: D3E1809C 0E72A166
	v_mfma_f32_16x16x16_bf16 a[112:115], a[104:105], v[82:83], a[112:115]// 000000009A00: D3E18070 0DC2A568
	ds_read_b128 v[68:71], v19 offset:22016                    // 000000009A08: D9FE5600 44000013
	v_mfma_f32_16x16x16_bf16 a[116:119], a[106:107], v[82:83], a[116:119]// 000000009A10: D3E18074 0DD2A56A
	buffer_atomic_add_f32 v158, v6, s[32:35], 0 idxen offset:128// 000000009A18: E1342080 80089E06
	v_mfma_f32_16x16x16_bf16 a[120:123], a[108:109], v[82:83], a[120:123]// 000000009A20: D3E18078 0DE2A56C
	ds_read_b128 v[72:75], v19 offset:23168                    // 000000009A28: D9FE5A80 48000013
	v_mfma_f32_16x16x16_bf16 a[124:127], a[110:111], v[82:83], a[124:127]// 000000009A30: D3E1807C 0DF2A56E
	v_mfma_f32_16x16x16_bf16 a[128:131], a[104:105], v[84:85], a[128:131]// 000000009A38: D3E18080 0E02A968
	ds_write_b32 v15, v104 offset:13056                        // 000000009A40: D81A3300 0000680F
	v_mfma_f32_16x16x16_bf16 a[132:135], a[106:107], v[84:85], a[132:135]// 000000009A48: D3E18084 0E12A96A
	v_mfma_f32_16x16x16_bf16 a[136:139], a[108:109], v[84:85], a[136:139]// 000000009A50: D3E18088 0E22A96C
	ds_write_b32 v15, v105 offset:14112                        // 000000009A58: D81A3720 0000690F
	v_mfma_f32_16x16x16_bf16 a[140:143], a[110:111], v[84:85], a[140:143]// 000000009A60: D3E1808C 0E32A96E
	buffer_atomic_add_f32 v159, v7, s[32:35], 0 idxen offset:128// 000000009A68: E1342080 80089F07
	v_mfma_f32_16x16x16_bf16 a[144:147], a[104:105], v[86:87], a[144:147]// 000000009A70: D3E18090 0E42AD68
	ds_write_b32 v15, v106 offset:15232                        // 000000009A78: D81A3B80 00006A0F
	v_mfma_f32_16x16x16_bf16 a[148:151], a[106:107], v[86:87], a[148:151]// 000000009A80: D3E18094 0E52AD6A
	v_mfma_f32_16x16x16_bf16 a[152:155], a[108:109], v[86:87], a[152:155]// 000000009A88: D3E18098 0E62AD6C
	ds_write_b32 v15, v107 offset:16288                        // 000000009A90: D81A3FA0 00006B0F
	v_mfma_f32_16x16x16_bf16 a[156:159], a[110:111], v[86:87], a[156:159]// 000000009A98: D3E1809C 0E72AD6E
	s_waitcnt vmcnt(8) lgkmcnt(4)                              // 000000009AA0: BF8C0478
	s_barrier                                                  // 000000009AA4: BF8A0000
	v_mfma_f32_16x16x16_bf16 v[148:151], v[52:53], a[24:25], 0 // 000000009AA8: D3E10094 12023134
	ds_read_b128 a[96:99], v12                                 // 000000009AB0: DBFE0000 6000000C
	buffer_load_dword v36, v1, s[8:11], 0 idxen                // 000000009AB8: E0502000 80022401
	v_mfma_f32_16x16x16_bf16 v[148:151], v[54:55], a[28:29], v[148:151]// 000000009AC0: D3E10094 16523936
	v_mul_f32_e32 v140, s48, v140                              // 000000009AC8: 0B191830
	v_mul_f32_e32 v144, s48, v144                              // 000000009ACC: 0B212030
	s_nop 0                                                    // 000000009AD0: BF800000
	v_mfma_f32_16x16x16_bf16 v[148:151], v[56:57], a[32:33], v[148:151]// 000000009AD4: D3E10094 16524138
	ds_read_b128 a[100:103], v12 offset:512                    // 000000009ADC: DBFE0200 6400000C
	buffer_load_dword v37, v2, s[8:11], 0 idxen                // 000000009AE4: E0502000 80022502
	v_mfma_f32_16x16x16_bf16 v[148:151], v[58:59], a[36:37], v[148:151]// 000000009AEC: D3E10094 1652493A
	v_mfma_f32_16x16x16_bf16 v[148:151], v[60:61], a[40:41], v[148:151]// 000000009AF4: D3E10094 1652513C
	ds_read_b128 a[104:107], v12 offset:2176                   // 000000009AFC: DBFE0880 6800000C
	buffer_load_dword v38, v3, s[8:11], 0 idxen                // 000000009B04: E0502000 80022603
	v_mfma_f32_16x16x16_bf16 v[148:151], v[62:63], a[44:45], v[148:151]// 000000009B0C: D3E10094 1652593E
	v_perm_b32 v100, v41, v40, s63                             // 000000009B14: D1ED0064 00FE5129
	v_perm_b32 v101, v41, v40, s64                             // 000000009B1C: D1ED0065 01025129
	v_mfma_f32_16x16x16_bf16 v[148:151], v[64:65], a[48:49], v[148:151]// 000000009B24: D3E10094 16526140
	ds_read_b128 a[108:111], v12 offset:2688                   // 000000009B2C: DBFE0A80 6C00000C
	buffer_load_dword v39, v4, s[8:11], 0 idxen                // 000000009B34: E0502000 80022704
	v_mfma_f32_16x16x16_bf16 v[148:151], v[66:67], a[52:53], v[148:151]// 000000009B3C: D3E10094 16526942
	v_perm_b32 v102, v43, v42, s63                             // 000000009B44: D1ED0066 00FE552B
	v_perm_b32 v103, v43, v42, s64                             // 000000009B4C: D1ED0067 0102552B
	v_mfma_f32_16x16x16_bf16 v[148:151], v[68:69], a[56:57], v[148:151]// 000000009B54: D3E10094 16527144
	ds_read_b128 v[108:111], v12 offset:8704                   // 000000009B5C: D9FE2200 6C00000C
	buffer_load_dword v44, v231, s[20:23], 0 idxen             // 000000009B64: E0502000 80052CE7
	v_mfma_f32_16x16x16_bf16 v[148:151], v[70:71], a[60:61], v[148:151]// 000000009B6C: D3E10094 16527946
	v_perm_b32 v104, v49, v48, s63                             // 000000009B74: D1ED0068 00FE6131
	v_perm_b32 v105, v49, v48, s64                             // 000000009B7C: D1ED0069 01026131
	v_mfma_f32_16x16x16_bf16 v[148:151], v[72:73], a[64:65], v[148:151]// 000000009B84: D3E10094 16528148
	ds_read_b128 v[112:115], v12 offset:9216                   // 000000009B8C: D9FE2400 7000000C
	buffer_load_dword v45, v232, s[20:23], 0 idxen             // 000000009B94: E0502000 80052DE8
	v_mfma_f32_16x16x16_bf16 v[148:151], v[74:75], a[68:69], v[148:151]// 000000009B9C: D3E10094 1652894A
	v_perm_b32 v106, v51, v50, s63                             // 000000009BA4: D1ED006A 00FE6533
	v_perm_b32 v107, v51, v50, s64                             // 000000009BAC: D1ED006B 01026533
	v_mfma_f32_16x16x16_bf16 v[152:155], v[52:53], a[26:27], 0 // 000000009BB4: D3E10098 12023534
	ds_read_b128 v[116:119], v12 offset:10880                  // 000000009BBC: D9FE2A80 7400000C
	buffer_load_dword v46, v233, s[20:23], 0 idxen             // 000000009BC4: E0502000 80052EE9
	v_mfma_f32_16x16x16_bf16 v[152:155], v[54:55], a[30:31], v[152:155]// 000000009BCC: D3E10098 16623D36
	v_mov_b32_dpp v143, v140 quad_perm:[3,3,3,3] row_mask:0xf bank_mask:0xf// 000000009BD4: 7F1E02FA FF00FF8C
	v_mov_b32_dpp v142, v140 quad_perm:[2,2,2,2] row_mask:0xf bank_mask:0xf// 000000009BDC: 7F1C02FA FF00AA8C
	v_mov_b32_dpp v141, v140 quad_perm:[1,1,1,1] row_mask:0xf bank_mask:0xf// 000000009BE4: 7F1A02FA FF00558C
	v_mov_b32_dpp v140, v140 quad_perm:[0,0,0,0] row_mask:0xf bank_mask:0xf// 000000009BEC: 7F1802FA FF00008C
	v_mfma_f32_16x16x16_bf16 v[152:155], v[56:57], a[34:35], v[152:155]// 000000009BF4: D3E10098 16624538
	ds_read_b128 v[120:123], v12 offset:11392                  // 000000009BFC: D9FE2C80 7800000C
	buffer_load_dword v47, v234, s[20:23], 0 idxen             // 000000009C04: E0502000 80052FEA
	v_mfma_f32_16x16x16_bf16 v[152:155], v[58:59], a[38:39], v[152:155]// 000000009C0C: D3E10098 16624D3A
	v_mov_b32_dpp v147, v144 quad_perm:[3,3,3,3] row_mask:0xf bank_mask:0xf// 000000009C14: 7F2602FA FF00FF90
	v_mov_b32_dpp v146, v144 quad_perm:[2,2,2,2] row_mask:0xf bank_mask:0xf// 000000009C1C: 7F2402FA FF00AA90
	v_mov_b32_dpp v145, v144 quad_perm:[1,1,1,1] row_mask:0xf bank_mask:0xf// 000000009C24: 7F2202FA FF005590
	v_mov_b32_dpp v144, v144 quad_perm:[0,0,0,0] row_mask:0xf bank_mask:0xf// 000000009C2C: 7F2002FA FF000090
	s_add_u32 s60, 0x80, s59                                   // 000000009C34: 803C3BFF 00000080
	v_mfma_f32_16x16x16_bf16 v[152:155], v[60:61], a[42:43], v[152:155]// 000000009C3C: D3E10098 1662553C
	buffer_load_dword v11, s[24:27], 0 idxen lds               // 000000009C44: E0512000 8006000B
	v_mfma_f32_16x16x16_bf16 v[152:155], v[62:63], a[46:47], v[152:155]// 000000009C4C: D3E10098 16625D3E
	s_cmp_lt_u32 s60, s58                                      // 000000009C54: BF0A3A3C
	s_cselect_b32 s68, s68, 0                                  // 000000009C58: 85448044
	s_cselect_b32 s81, s81, 0                                  // 000000009C5C: 85518051
	s_cselect_b32 s69, s69, 0                                  // 000000009C60: 85458045
	v_mfma_f32_16x16x16_bf16 v[152:155], v[64:65], a[50:51], v[152:155]// 000000009C64: D3E10098 16626540
	v_add_u32_e32 v1, s68, v1                                  // 000000009C6C: 68020244
	v_add_u32_e32 v2, s68, v2                                  // 000000009C70: 68040444
	v_add_u32_e32 v3, s68, v3                                  // 000000009C74: 68060644
	v_add_u32_e32 v4, s68, v4                                  // 000000009C78: 68080844
	v_mfma_f32_16x16x16_bf16 v[152:155], v[66:67], a[54:55], v[152:155]// 000000009C7C: D3E10098 16626D42
	v_add_u32_e32 v231, s81, v231                              // 000000009C84: 69CFCE51
	v_add_u32_e32 v232, s81, v232                              // 000000009C88: 69D1D051
	v_add_u32_e32 v233, s81, v233                              // 000000009C8C: 69D3D251
	v_add_u32_e32 v234, s81, v234                              // 000000009C90: 69D5D451
	v_mfma_f32_16x16x16_bf16 v[152:155], v[68:69], a[58:59], v[152:155]// 000000009C94: D3E10098 16627544
	s_mov_b32 m0, s77                                          // 000000009C9C: BEFC004D
	v_add_u32_e32 v11, s69, v11                                // 000000009CA0: 68161645
	v_mfma_f32_16x16x16_bf16 v[152:155], v[70:71], a[62:63], v[152:155]// 000000009CA4: D3E10098 16627D46
	s_cmp_ge_u32 s59, 32                                       // 000000009CAC: BF09A03B
	s_cselect_b32 s66, s67, s66                                // 000000009CB0: 85424243
	v_mfma_f32_16x16x16_bf16 v[152:155], v[72:73], a[66:67], v[152:155]// 000000009CB4: D3E10098 16628548
	s_addk_i32 s59, 0x20                                       // 000000009CBC: B73B0020
	s_nop 0                                                    // 000000009CC0: BF800000
	s_cmp_lt_i32 s59, s58                                      // 000000009CC4: BF043A3B
	v_mfma_f32_16x16x16_bf16 v[152:155], v[74:75], a[70:71], v[152:155]// 000000009CC8: D3E10098 16628D4A
	s_cbranch_scc0 label_0F02                                  // 000000009CD0: BF84F73B
	s_branch label_0F05                                        // 000000009CD4: BF82F73D

0000000000009cd8 <label_17DA>:
	buffer_atomic_add_f32 v160, v8, s[32:35], 0 idxen          // 000000009CD8: E1342000 8008A008
	buffer_atomic_add_f32 v161, v9, s[32:35], 0 idxen          // 000000009CE0: E1342000 8008A109
	buffer_atomic_add_f32 v162, v8, s[32:35], 0 idxen offset:128// 000000009CE8: E1342080 8008A208
	buffer_atomic_add_f32 v163, v9, s[32:35], 0 idxen offset:128// 000000009CF0: E1342080 8008A309
	v_add_u32_e32 v6, s66, v6                                  // 000000009CF8: 680C0C42
	v_add_u32_e32 v7, s66, v7                                  // 000000009CFC: 680E0E42
	v_add_u32_e32 v8, s66, v8                                  // 000000009D00: 68101042
	v_add_u32_e32 v9, s66, v9                                  // 000000009D04: 68121242
	v_lshrrev_b32_e32 v32, 5, v0                               // 000000009D08: 20400085
	v_mul_i32_i24_e32 v27, 0x44, v32                           // 000000009D0C: 0C3640FF 00000044
	v_and_b32_e32 v32, 31, v0                                  // 000000009D14: 2640009F
	v_mul_i32_i24_e32 v33, 2, v32                              // 000000009D18: 0C424082
	v_add_u32_e32 v27, v33, v27                                // 000000009D1C: 68363721
	s_mul_i32 s60, s46, 0x220                                  // 000000009D20: 923CFF2E 00000220
	v_add_u32_e32 v27, s60, v27                                // 000000009D28: 6836363C
	v_lshlrev_b32_e32 v27, 2, v27                              // 000000009D2C: 24363682
	v_mul_f32_e32 v148, s47, v148                              // 000000009D30: 0B29282F
	v_mul_f32_e32 v149, s47, v149                              // 000000009D34: 0B2B2A2F
	v_mul_f32_e32 v150, s47, v150                              // 000000009D38: 0B2D2C2F
	v_mul_f32_e32 v151, s47, v151                              // 000000009D3C: 0B2F2E2F
	v_mul_f32_e32 v152, s47, v152                              // 000000009D40: 0B31302F
	v_mul_f32_e32 v153, s47, v153                              // 000000009D44: 0B33322F
	v_mul_f32_e32 v154, s47, v154                              // 000000009D48: 0B35342F
	v_mul_f32_e32 v155, s47, v155                              // 000000009D4C: 0B37362F
	ds_write_b64 v22, v[148:149] offset:31232                  // 000000009D50: D89A7A00 00009416
	ds_write_b64 v22, v[150:151] offset:31744                  // 000000009D58: D89A7C00 00009616
	ds_write_b64 v22, v[152:153] offset:32256                  // 000000009D60: D89A7E00 00009816
	ds_write_b64 v22, v[154:155] offset:32768                  // 000000009D68: D89A8000 00009A16
	s_waitcnt lgkmcnt(0)                                       // 000000009D70: BF8CC07F
	s_barrier                                                  // 000000009D74: BF8A0000
	ds_read_b64 v[156:157], v21 offset:31232                   // 000000009D78: D8EC7A00 9C000015
	ds_read_b64 v[158:159], v21 offset:33280                   // 000000009D80: D8EC8200 9E000015
	ds_read_b64 v[160:161], v21 offset:35328                   // 000000009D88: D8EC8A00 A0000015
	ds_read_b64 v[162:163], v21 offset:37376                   // 000000009D90: D8EC9200 A2000015
	s_waitcnt lgkmcnt(0)                                       // 000000009D98: BF8CC07F
	s_barrier                                                  // 000000009D9C: BF8A0000
	buffer_atomic_add_f32 v156, v6, s[32:35], 0 idxen          // 000000009DA0: E1342000 80089C06
	buffer_atomic_add_f32 v157, v7, s[32:35], 0 idxen          // 000000009DA8: E1342000 80089D07
	buffer_atomic_add_f32 v158, v6, s[32:35], 0 idxen offset:128// 000000009DB0: E1342080 80089E06
	buffer_atomic_add_f32 v159, v7, s[32:35], 0 idxen offset:128// 000000009DB8: E1342080 80089F07
	buffer_atomic_add_f32 v160, v8, s[32:35], 0 idxen          // 000000009DC0: E1342000 8008A008
	buffer_atomic_add_f32 v161, v9, s[32:35], 0 idxen          // 000000009DC8: E1342000 8008A109
	buffer_atomic_add_f32 v162, v8, s[32:35], 0 idxen offset:128// 000000009DD0: E1342080 8008A208
	buffer_atomic_add_f32 v163, v9, s[32:35], 0 idxen offset:128// 000000009DD8: E1342080 8008A309
	v_lshrrev_b32_e32 v32, 3, v0                               // 000000009DE0: 20400083
	v_mul_i32_i24_e32 v26, 2, v32                              // 000000009DE4: 0C344082
	v_and_b32_e32 v32, 7, v0                                   // 000000009DE8: 26400087
	v_mul_i32_i24_e32 v33, 0x44, v32                           // 000000009DEC: 0C4240FF 00000044
	v_add_u32_e32 v26, v33, v26                                // 000000009DF4: 68343521
	s_mul_i32 s60, s46, 0x220                                  // 000000009DF8: 923CFF2E 00000220
	v_add_u32_e32 v26, s60, v26                                // 000000009E00: 6834343C
	v_lshlrev_b32_e32 v26, 2, v26                              // 000000009E04: 24343482
	v_accvgpr_read_b32 v34, a112                               // 000000009E08: D3D84022 18000170
	v_accvgpr_read_b32 v35, a113                               // 000000009E10: D3D84023 18000171
	v_mul_f32_e32 v34, s47, v34                                // 000000009E18: 0A44442F
	v_mul_f32_e32 v35, s47, v35                                // 000000009E1C: 0A46462F
	v_cmp_u_f32_e64 s[74:75], v34, v34                         // 000000009E20: D048004A 00024522
	v_bfe_u32 v226, v34, 16, 1                                 // 000000009E28: D1C800E2 02052122
	v_add3_u32 v226, v34, v226, v229                           // 000000009E30: D1FF00E2 0797C522
	v_cndmask_b32_e64 v32, v226, v228, s[74:75]                // 000000009E38: D1000020 012BC9E2
	v_lshrrev_b32_e32 v32, 16, v32                             // 000000009E40: 20404090
	v_cmp_u_f32_e64 s[74:75], v35, v35                         // 000000009E44: D048004A 00024723
	v_bfe_u32 v226, v35, 16, 1                                 // 000000009E4C: D1C800E2 02052123
	v_add3_u32 v226, v35, v226, v229                           // 000000009E54: D1FF00E2 0797C523
	v_cndmask_b32_e64 v33, v226, v228, s[74:75]                // 000000009E5C: D1000021 012BC9E2
	v_and_or_b32 v52, v33, v227, v32                           // 000000009E64: D2010034 0483C721
	v_accvgpr_read_b32 v34, a114                               // 000000009E6C: D3D84022 18000172
	v_accvgpr_read_b32 v35, a115                               // 000000009E74: D3D84023 18000173
	v_mul_f32_e32 v34, s47, v34                                // 000000009E7C: 0A44442F
	v_mul_f32_e32 v35, s47, v35                                // 000000009E80: 0A46462F
	v_cmp_u_f32_e64 s[74:75], v34, v34                         // 000000009E84: D048004A 00024522
	v_bfe_u32 v226, v34, 16, 1                                 // 000000009E8C: D1C800E2 02052122
	v_add3_u32 v226, v34, v226, v229                           // 000000009E94: D1FF00E2 0797C522
	v_cndmask_b32_e64 v32, v226, v228, s[74:75]                // 000000009E9C: D1000020 012BC9E2
	v_lshrrev_b32_e32 v32, 16, v32                             // 000000009EA4: 20404090
	v_cmp_u_f32_e64 s[74:75], v35, v35                         // 000000009EA8: D048004A 00024723
	v_bfe_u32 v226, v35, 16, 1                                 // 000000009EB0: D1C800E2 02052123
	v_add3_u32 v226, v35, v226, v229                           // 000000009EB8: D1FF00E2 0797C523
	v_cndmask_b32_e64 v33, v226, v228, s[74:75]                // 000000009EC0: D1000021 012BC9E2
	v_and_or_b32 v53, v33, v227, v32                           // 000000009EC8: D2010035 0483C721
	v_accvgpr_read_b32 v34, a116                               // 000000009ED0: D3D84022 18000174
	v_accvgpr_read_b32 v35, a117                               // 000000009ED8: D3D84023 18000175
	v_mul_f32_e32 v34, s47, v34                                // 000000009EE0: 0A44442F
	v_mul_f32_e32 v35, s47, v35                                // 000000009EE4: 0A46462F
	v_cmp_u_f32_e64 s[74:75], v34, v34                         // 000000009EE8: D048004A 00024522
	v_bfe_u32 v226, v34, 16, 1                                 // 000000009EF0: D1C800E2 02052122
	v_add3_u32 v226, v34, v226, v229                           // 000000009EF8: D1FF00E2 0797C522
	v_cndmask_b32_e64 v32, v226, v228, s[74:75]                // 000000009F00: D1000020 012BC9E2
	v_lshrrev_b32_e32 v32, 16, v32                             // 000000009F08: 20404090
	v_cmp_u_f32_e64 s[74:75], v35, v35                         // 000000009F0C: D048004A 00024723
	v_bfe_u32 v226, v35, 16, 1                                 // 000000009F14: D1C800E2 02052123
	v_add3_u32 v226, v35, v226, v229                           // 000000009F1C: D1FF00E2 0797C523
	v_cndmask_b32_e64 v33, v226, v228, s[74:75]                // 000000009F24: D1000021 012BC9E2
	v_and_or_b32 v54, v33, v227, v32                           // 000000009F2C: D2010036 0483C721
	v_accvgpr_read_b32 v34, a118                               // 000000009F34: D3D84022 18000176
	v_accvgpr_read_b32 v35, a119                               // 000000009F3C: D3D84023 18000177
	v_mul_f32_e32 v34, s47, v34                                // 000000009F44: 0A44442F
	v_mul_f32_e32 v35, s47, v35                                // 000000009F48: 0A46462F
	v_cmp_u_f32_e64 s[74:75], v34, v34                         // 000000009F4C: D048004A 00024522
	v_bfe_u32 v226, v34, 16, 1                                 // 000000009F54: D1C800E2 02052122
	v_add3_u32 v226, v34, v226, v229                           // 000000009F5C: D1FF00E2 0797C522
	v_cndmask_b32_e64 v32, v226, v228, s[74:75]                // 000000009F64: D1000020 012BC9E2
	v_lshrrev_b32_e32 v32, 16, v32                             // 000000009F6C: 20404090
	v_cmp_u_f32_e64 s[74:75], v35, v35                         // 000000009F70: D048004A 00024723
	v_bfe_u32 v226, v35, 16, 1                                 // 000000009F78: D1C800E2 02052123
	v_add3_u32 v226, v35, v226, v229                           // 000000009F80: D1FF00E2 0797C523
	v_cndmask_b32_e64 v33, v226, v228, s[74:75]                // 000000009F88: D1000021 012BC9E2
	v_and_or_b32 v55, v33, v227, v32                           // 000000009F90: D2010037 0483C721
	v_accvgpr_read_b32 v34, a120                               // 000000009F98: D3D84022 18000178
	v_accvgpr_read_b32 v35, a121                               // 000000009FA0: D3D84023 18000179
	v_mul_f32_e32 v34, s47, v34                                // 000000009FA8: 0A44442F
	v_mul_f32_e32 v35, s47, v35                                // 000000009FAC: 0A46462F
	v_cmp_u_f32_e64 s[74:75], v34, v34                         // 000000009FB0: D048004A 00024522
	v_bfe_u32 v226, v34, 16, 1                                 // 000000009FB8: D1C800E2 02052122
	v_add3_u32 v226, v34, v226, v229                           // 000000009FC0: D1FF00E2 0797C522
	v_cndmask_b32_e64 v32, v226, v228, s[74:75]                // 000000009FC8: D1000020 012BC9E2
	v_lshrrev_b32_e32 v32, 16, v32                             // 000000009FD0: 20404090
	v_cmp_u_f32_e64 s[74:75], v35, v35                         // 000000009FD4: D048004A 00024723
	v_bfe_u32 v226, v35, 16, 1                                 // 000000009FDC: D1C800E2 02052123
	v_add3_u32 v226, v35, v226, v229                           // 000000009FE4: D1FF00E2 0797C523
	v_cndmask_b32_e64 v33, v226, v228, s[74:75]                // 000000009FEC: D1000021 012BC9E2
	v_and_or_b32 v56, v33, v227, v32                           // 000000009FF4: D2010038 0483C721
	v_accvgpr_read_b32 v34, a122                               // 000000009FFC: D3D84022 1800017A
	v_accvgpr_read_b32 v35, a123                               // 00000000A004: D3D84023 1800017B
	v_mul_f32_e32 v34, s47, v34                                // 00000000A00C: 0A44442F
	v_mul_f32_e32 v35, s47, v35                                // 00000000A010: 0A46462F
	v_cmp_u_f32_e64 s[74:75], v34, v34                         // 00000000A014: D048004A 00024522
	v_bfe_u32 v226, v34, 16, 1                                 // 00000000A01C: D1C800E2 02052122
	v_add3_u32 v226, v34, v226, v229                           // 00000000A024: D1FF00E2 0797C522
	v_cndmask_b32_e64 v32, v226, v228, s[74:75]                // 00000000A02C: D1000020 012BC9E2
	v_lshrrev_b32_e32 v32, 16, v32                             // 00000000A034: 20404090
	v_cmp_u_f32_e64 s[74:75], v35, v35                         // 00000000A038: D048004A 00024723
	v_bfe_u32 v226, v35, 16, 1                                 // 00000000A040: D1C800E2 02052123
	v_add3_u32 v226, v35, v226, v229                           // 00000000A048: D1FF00E2 0797C523
	v_cndmask_b32_e64 v33, v226, v228, s[74:75]                // 00000000A050: D1000021 012BC9E2
	v_and_or_b32 v57, v33, v227, v32                           // 00000000A058: D2010039 0483C721
	v_accvgpr_read_b32 v34, a124                               // 00000000A060: D3D84022 1800017C
	v_accvgpr_read_b32 v35, a125                               // 00000000A068: D3D84023 1800017D
	v_mul_f32_e32 v34, s47, v34                                // 00000000A070: 0A44442F
	v_mul_f32_e32 v35, s47, v35                                // 00000000A074: 0A46462F
	v_cmp_u_f32_e64 s[74:75], v34, v34                         // 00000000A078: D048004A 00024522
	v_bfe_u32 v226, v34, 16, 1                                 // 00000000A080: D1C800E2 02052122
	v_add3_u32 v226, v34, v226, v229                           // 00000000A088: D1FF00E2 0797C522
	v_cndmask_b32_e64 v32, v226, v228, s[74:75]                // 00000000A090: D1000020 012BC9E2
	v_lshrrev_b32_e32 v32, 16, v32                             // 00000000A098: 20404090
	v_cmp_u_f32_e64 s[74:75], v35, v35                         // 00000000A09C: D048004A 00024723
	v_bfe_u32 v226, v35, 16, 1                                 // 00000000A0A4: D1C800E2 02052123
	v_add3_u32 v226, v35, v226, v229                           // 00000000A0AC: D1FF00E2 0797C523
	v_cndmask_b32_e64 v33, v226, v228, s[74:75]                // 00000000A0B4: D1000021 012BC9E2
	v_and_or_b32 v58, v33, v227, v32                           // 00000000A0BC: D201003A 0483C721
	v_accvgpr_read_b32 v34, a126                               // 00000000A0C4: D3D84022 1800017E
	v_accvgpr_read_b32 v35, a127                               // 00000000A0CC: D3D84023 1800017F
	v_mul_f32_e32 v34, s47, v34                                // 00000000A0D4: 0A44442F
	v_mul_f32_e32 v35, s47, v35                                // 00000000A0D8: 0A46462F
	v_cmp_u_f32_e64 s[74:75], v34, v34                         // 00000000A0DC: D048004A 00024522
	v_bfe_u32 v226, v34, 16, 1                                 // 00000000A0E4: D1C800E2 02052122
	v_add3_u32 v226, v34, v226, v229                           // 00000000A0EC: D1FF00E2 0797C522
	v_cndmask_b32_e64 v32, v226, v228, s[74:75]                // 00000000A0F4: D1000020 012BC9E2
	v_lshrrev_b32_e32 v32, 16, v32                             // 00000000A0FC: 20404090
	v_cmp_u_f32_e64 s[74:75], v35, v35                         // 00000000A100: D048004A 00024723
	v_bfe_u32 v226, v35, 16, 1                                 // 00000000A108: D1C800E2 02052123
	v_add3_u32 v226, v35, v226, v229                           // 00000000A110: D1FF00E2 0797C523
	v_cndmask_b32_e64 v33, v226, v228, s[74:75]                // 00000000A118: D1000021 012BC9E2
	v_and_or_b32 v59, v33, v227, v32                           // 00000000A120: D201003B 0483C721
	ds_write_b64 v27, v[52:53]                                 // 00000000A128: D89A0000 0000341B
	ds_write_b64 v27, v[54:55] offset:544                      // 00000000A130: D89A0220 0000361B
	ds_write_b64 v27, v[56:57] offset:1088                     // 00000000A138: D89A0440 0000381B
	ds_write_b64 v27, v[58:59] offset:1632                     // 00000000A140: D89A0660 00003A1B
	s_waitcnt lgkmcnt(0)                                       // 00000000A148: BF8CC07F
	s_barrier                                                  // 00000000A14C: BF8A0000
	ds_read_b64 v[52:53], v26                                  // 00000000A150: D8EC0000 3400001A
	ds_read_b64 v[54:55], v26 offset:128                       // 00000000A158: D8EC0080 3600001A
	ds_read_b64 v[56:57], v26 offset:64                        // 00000000A160: D8EC0040 3800001A
	ds_read_b64 v[58:59], v26 offset:192                       // 00000000A168: D8EC00C0 3A00001A
	s_waitcnt lgkmcnt(0)                                       // 00000000A170: BF8CC07F
	s_mov_b32 s70, s52                                         // 00000000A174: BEC60034
	buffer_store_dwordx4 v[52:55], v5, s[36:39], 0 idxen       // 00000000A178: E07C2000 80093405
	s_mul_i32 s60, 2, s70                                      // 00000000A180: 923C4682
	v_add_u32_e32 v5, s60, v5                                  // 00000000A184: 680A0A3C
	buffer_store_dwordx4 v[56:59], v5, s[36:39], 0 idxen       // 00000000A188: E07C2000 80093805
	s_mul_i32 s60, 2, s70                                      // 00000000A190: 923C4682
	v_add_u32_e32 v5, s60, v5                                  // 00000000A194: 680A0A3C
	s_mul_i32 s60, 12, s70                                     // 00000000A198: 923C468C
	v_add_u32_e32 v5, s60, v5                                  // 00000000A19C: 680A0A3C
	s_barrier                                                  // 00000000A1A0: BF8A0000
	s_cmp_ge_i32 1, s73                                        // 00000000A1A4: BF034981
	s_cbranch_scc1 label_1AE1                                  // 00000000A1A8: BF8501D2
	v_accvgpr_read_b32 v34, a128                               // 00000000A1AC: D3D84022 18000180
	v_accvgpr_read_b32 v35, a129                               // 00000000A1B4: D3D84023 18000181
	v_mul_f32_e32 v34, s47, v34                                // 00000000A1BC: 0A44442F
	v_mul_f32_e32 v35, s47, v35                                // 00000000A1C0: 0A46462F
	v_cmp_u_f32_e64 s[74:75], v34, v34                         // 00000000A1C4: D048004A 00024522
	v_bfe_u32 v226, v34, 16, 1                                 // 00000000A1CC: D1C800E2 02052122
	v_add3_u32 v226, v34, v226, v229                           // 00000000A1D4: D1FF00E2 0797C522
	v_cndmask_b32_e64 v32, v226, v228, s[74:75]                // 00000000A1DC: D1000020 012BC9E2
	v_lshrrev_b32_e32 v32, 16, v32                             // 00000000A1E4: 20404090
	v_cmp_u_f32_e64 s[74:75], v35, v35                         // 00000000A1E8: D048004A 00024723
	v_bfe_u32 v226, v35, 16, 1                                 // 00000000A1F0: D1C800E2 02052123
	v_add3_u32 v226, v35, v226, v229                           // 00000000A1F8: D1FF00E2 0797C523
	v_cndmask_b32_e64 v33, v226, v228, s[74:75]                // 00000000A200: D1000021 012BC9E2
	v_and_or_b32 v60, v33, v227, v32                           // 00000000A208: D201003C 0483C721
	v_accvgpr_read_b32 v34, a130                               // 00000000A210: D3D84022 18000182
	v_accvgpr_read_b32 v35, a131                               // 00000000A218: D3D84023 18000183
	v_mul_f32_e32 v34, s47, v34                                // 00000000A220: 0A44442F
	v_mul_f32_e32 v35, s47, v35                                // 00000000A224: 0A46462F
	v_cmp_u_f32_e64 s[74:75], v34, v34                         // 00000000A228: D048004A 00024522
	v_bfe_u32 v226, v34, 16, 1                                 // 00000000A230: D1C800E2 02052122
	v_add3_u32 v226, v34, v226, v229                           // 00000000A238: D1FF00E2 0797C522
	v_cndmask_b32_e64 v32, v226, v228, s[74:75]                // 00000000A240: D1000020 012BC9E2
	v_lshrrev_b32_e32 v32, 16, v32                             // 00000000A248: 20404090
	v_cmp_u_f32_e64 s[74:75], v35, v35                         // 00000000A24C: D048004A 00024723
	v_bfe_u32 v226, v35, 16, 1                                 // 00000000A254: D1C800E2 02052123
	v_add3_u32 v226, v35, v226, v229                           // 00000000A25C: D1FF00E2 0797C523
	v_cndmask_b32_e64 v33, v226, v228, s[74:75]                // 00000000A264: D1000021 012BC9E2
	v_and_or_b32 v61, v33, v227, v32                           // 00000000A26C: D201003D 0483C721
	v_accvgpr_read_b32 v34, a132                               // 00000000A274: D3D84022 18000184
	v_accvgpr_read_b32 v35, a133                               // 00000000A27C: D3D84023 18000185
	v_mul_f32_e32 v34, s47, v34                                // 00000000A284: 0A44442F
	v_mul_f32_e32 v35, s47, v35                                // 00000000A288: 0A46462F
	v_cmp_u_f32_e64 s[74:75], v34, v34                         // 00000000A28C: D048004A 00024522
	v_bfe_u32 v226, v34, 16, 1                                 // 00000000A294: D1C800E2 02052122
	v_add3_u32 v226, v34, v226, v229                           // 00000000A29C: D1FF00E2 0797C522
	v_cndmask_b32_e64 v32, v226, v228, s[74:75]                // 00000000A2A4: D1000020 012BC9E2
	v_lshrrev_b32_e32 v32, 16, v32                             // 00000000A2AC: 20404090
	v_cmp_u_f32_e64 s[74:75], v35, v35                         // 00000000A2B0: D048004A 00024723
	v_bfe_u32 v226, v35, 16, 1                                 // 00000000A2B8: D1C800E2 02052123
	v_add3_u32 v226, v35, v226, v229                           // 00000000A2C0: D1FF00E2 0797C523
	v_cndmask_b32_e64 v33, v226, v228, s[74:75]                // 00000000A2C8: D1000021 012BC9E2
	v_and_or_b32 v62, v33, v227, v32                           // 00000000A2D0: D201003E 0483C721
	v_accvgpr_read_b32 v34, a134                               // 00000000A2D8: D3D84022 18000186
	v_accvgpr_read_b32 v35, a135                               // 00000000A2E0: D3D84023 18000187
	v_mul_f32_e32 v34, s47, v34                                // 00000000A2E8: 0A44442F
	v_mul_f32_e32 v35, s47, v35                                // 00000000A2EC: 0A46462F
	v_cmp_u_f32_e64 s[74:75], v34, v34                         // 00000000A2F0: D048004A 00024522
	v_bfe_u32 v226, v34, 16, 1                                 // 00000000A2F8: D1C800E2 02052122
	v_add3_u32 v226, v34, v226, v229                           // 00000000A300: D1FF00E2 0797C522
	v_cndmask_b32_e64 v32, v226, v228, s[74:75]                // 00000000A308: D1000020 012BC9E2
	v_lshrrev_b32_e32 v32, 16, v32                             // 00000000A310: 20404090
	v_cmp_u_f32_e64 s[74:75], v35, v35                         // 00000000A314: D048004A 00024723
	v_bfe_u32 v226, v35, 16, 1                                 // 00000000A31C: D1C800E2 02052123
	v_add3_u32 v226, v35, v226, v229                           // 00000000A324: D1FF00E2 0797C523
	v_cndmask_b32_e64 v33, v226, v228, s[74:75]                // 00000000A32C: D1000021 012BC9E2
	v_and_or_b32 v63, v33, v227, v32                           // 00000000A334: D201003F 0483C721
	v_accvgpr_read_b32 v34, a136                               // 00000000A33C: D3D84022 18000188
	v_accvgpr_read_b32 v35, a137                               // 00000000A344: D3D84023 18000189
	v_mul_f32_e32 v34, s47, v34                                // 00000000A34C: 0A44442F
	v_mul_f32_e32 v35, s47, v35                                // 00000000A350: 0A46462F
	v_cmp_u_f32_e64 s[74:75], v34, v34                         // 00000000A354: D048004A 00024522
	v_bfe_u32 v226, v34, 16, 1                                 // 00000000A35C: D1C800E2 02052122
	v_add3_u32 v226, v34, v226, v229                           // 00000000A364: D1FF00E2 0797C522
	v_cndmask_b32_e64 v32, v226, v228, s[74:75]                // 00000000A36C: D1000020 012BC9E2
	v_lshrrev_b32_e32 v32, 16, v32                             // 00000000A374: 20404090
	v_cmp_u_f32_e64 s[74:75], v35, v35                         // 00000000A378: D048004A 00024723
	v_bfe_u32 v226, v35, 16, 1                                 // 00000000A380: D1C800E2 02052123
	v_add3_u32 v226, v35, v226, v229                           // 00000000A388: D1FF00E2 0797C523
	v_cndmask_b32_e64 v33, v226, v228, s[74:75]                // 00000000A390: D1000021 012BC9E2
	v_and_or_b32 v64, v33, v227, v32                           // 00000000A398: D2010040 0483C721
	v_accvgpr_read_b32 v34, a138                               // 00000000A3A0: D3D84022 1800018A
	v_accvgpr_read_b32 v35, a139                               // 00000000A3A8: D3D84023 1800018B
	v_mul_f32_e32 v34, s47, v34                                // 00000000A3B0: 0A44442F
	v_mul_f32_e32 v35, s47, v35                                // 00000000A3B4: 0A46462F
	v_cmp_u_f32_e64 s[74:75], v34, v34                         // 00000000A3B8: D048004A 00024522
	v_bfe_u32 v226, v34, 16, 1                                 // 00000000A3C0: D1C800E2 02052122
	v_add3_u32 v226, v34, v226, v229                           // 00000000A3C8: D1FF00E2 0797C522
	v_cndmask_b32_e64 v32, v226, v228, s[74:75]                // 00000000A3D0: D1000020 012BC9E2
	v_lshrrev_b32_e32 v32, 16, v32                             // 00000000A3D8: 20404090
	v_cmp_u_f32_e64 s[74:75], v35, v35                         // 00000000A3DC: D048004A 00024723
	v_bfe_u32 v226, v35, 16, 1                                 // 00000000A3E4: D1C800E2 02052123
	v_add3_u32 v226, v35, v226, v229                           // 00000000A3EC: D1FF00E2 0797C523
	v_cndmask_b32_e64 v33, v226, v228, s[74:75]                // 00000000A3F4: D1000021 012BC9E2
	v_and_or_b32 v65, v33, v227, v32                           // 00000000A3FC: D2010041 0483C721
	v_accvgpr_read_b32 v34, a140                               // 00000000A404: D3D84022 1800018C
	v_accvgpr_read_b32 v35, a141                               // 00000000A40C: D3D84023 1800018D
	v_mul_f32_e32 v34, s47, v34                                // 00000000A414: 0A44442F
	v_mul_f32_e32 v35, s47, v35                                // 00000000A418: 0A46462F
	v_cmp_u_f32_e64 s[74:75], v34, v34                         // 00000000A41C: D048004A 00024522
	v_bfe_u32 v226, v34, 16, 1                                 // 00000000A424: D1C800E2 02052122
	v_add3_u32 v226, v34, v226, v229                           // 00000000A42C: D1FF00E2 0797C522
	v_cndmask_b32_e64 v32, v226, v228, s[74:75]                // 00000000A434: D1000020 012BC9E2
	v_lshrrev_b32_e32 v32, 16, v32                             // 00000000A43C: 20404090
	v_cmp_u_f32_e64 s[74:75], v35, v35                         // 00000000A440: D048004A 00024723
	v_bfe_u32 v226, v35, 16, 1                                 // 00000000A448: D1C800E2 02052123
	v_add3_u32 v226, v35, v226, v229                           // 00000000A450: D1FF00E2 0797C523
	v_cndmask_b32_e64 v33, v226, v228, s[74:75]                // 00000000A458: D1000021 012BC9E2
	v_and_or_b32 v66, v33, v227, v32                           // 00000000A460: D2010042 0483C721
	v_accvgpr_read_b32 v34, a142                               // 00000000A468: D3D84022 1800018E
	v_accvgpr_read_b32 v35, a143                               // 00000000A470: D3D84023 1800018F
	v_mul_f32_e32 v34, s47, v34                                // 00000000A478: 0A44442F
	v_mul_f32_e32 v35, s47, v35                                // 00000000A47C: 0A46462F
	v_cmp_u_f32_e64 s[74:75], v34, v34                         // 00000000A480: D048004A 00024522
	v_bfe_u32 v226, v34, 16, 1                                 // 00000000A488: D1C800E2 02052122
	v_add3_u32 v226, v34, v226, v229                           // 00000000A490: D1FF00E2 0797C522
	v_cndmask_b32_e64 v32, v226, v228, s[74:75]                // 00000000A498: D1000020 012BC9E2
	v_lshrrev_b32_e32 v32, 16, v32                             // 00000000A4A0: 20404090
	v_cmp_u_f32_e64 s[74:75], v35, v35                         // 00000000A4A4: D048004A 00024723
	v_bfe_u32 v226, v35, 16, 1                                 // 00000000A4AC: D1C800E2 02052123
	v_add3_u32 v226, v35, v226, v229                           // 00000000A4B4: D1FF00E2 0797C523
	v_cndmask_b32_e64 v33, v226, v228, s[74:75]                // 00000000A4BC: D1000021 012BC9E2
	v_and_or_b32 v67, v33, v227, v32                           // 00000000A4C4: D2010043 0483C721
	ds_write_b64 v27, v[60:61] offset:8704                     // 00000000A4CC: D89A2200 00003C1B
	ds_write_b64 v27, v[62:63] offset:9248                     // 00000000A4D4: D89A2420 00003E1B
	ds_write_b64 v27, v[64:65] offset:9792                     // 00000000A4DC: D89A2640 0000401B
	ds_write_b64 v27, v[66:67] offset:10336                    // 00000000A4E4: D89A2860 0000421B
	s_waitcnt lgkmcnt(0)                                       // 00000000A4EC: BF8CC07F
	s_barrier                                                  // 00000000A4F0: BF8A0000
	ds_read_b64 v[60:61], v26 offset:8704                      // 00000000A4F4: D8EC2200 3C00001A
	ds_read_b64 v[62:63], v26 offset:8832                      // 00000000A4FC: D8EC2280 3E00001A
	ds_read_b64 v[64:65], v26 offset:8768                      // 00000000A504: D8EC2240 4000001A
	ds_read_b64 v[66:67], v26 offset:8896                      // 00000000A50C: D8EC22C0 4200001A
	s_waitcnt lgkmcnt(0)                                       // 00000000A514: BF8CC07F
	s_mov_b32 s70, s52                                         // 00000000A518: BEC60034
	buffer_store_dwordx4 v[60:63], v5, s[36:39], 0 idxen       // 00000000A51C: E07C2000 80093C05
	s_mul_i32 s60, 2, s70                                      // 00000000A524: 923C4682
	v_add_u32_e32 v5, s60, v5                                  // 00000000A528: 680A0A3C
	buffer_store_dwordx4 v[64:67], v5, s[36:39], 0 idxen       // 00000000A52C: E07C2000 80094005
	s_mul_i32 s60, 2, s70                                      // 00000000A534: 923C4682
	v_add_u32_e32 v5, s60, v5                                  // 00000000A538: 680A0A3C
	s_mul_i32 s60, 12, s70                                     // 00000000A53C: 923C468C
	v_add_u32_e32 v5, s60, v5                                  // 00000000A540: 680A0A3C
	s_barrier                                                  // 00000000A544: BF8A0000
	s_cmp_ge_i32 2, s73                                        // 00000000A548: BF034982
	s_cbranch_scc1 label_1AE1                                  // 00000000A54C: BF8500E9
	v_accvgpr_read_b32 v34, a144                               // 00000000A550: D3D84022 18000190
	v_accvgpr_read_b32 v35, a145                               // 00000000A558: D3D84023 18000191
	v_mul_f32_e32 v34, s47, v34                                // 00000000A560: 0A44442F
	v_mul_f32_e32 v35, s47, v35                                // 00000000A564: 0A46462F
	v_cmp_u_f32_e64 s[74:75], v34, v34                         // 00000000A568: D048004A 00024522
	v_bfe_u32 v226, v34, 16, 1                                 // 00000000A570: D1C800E2 02052122
	v_add3_u32 v226, v34, v226, v229                           // 00000000A578: D1FF00E2 0797C522
	v_cndmask_b32_e64 v32, v226, v228, s[74:75]                // 00000000A580: D1000020 012BC9E2
	v_lshrrev_b32_e32 v32, 16, v32                             // 00000000A588: 20404090
	v_cmp_u_f32_e64 s[74:75], v35, v35                         // 00000000A58C: D048004A 00024723
	v_bfe_u32 v226, v35, 16, 1                                 // 00000000A594: D1C800E2 02052123
	v_add3_u32 v226, v35, v226, v229                           // 00000000A59C: D1FF00E2 0797C523
	v_cndmask_b32_e64 v33, v226, v228, s[74:75]                // 00000000A5A4: D1000021 012BC9E2
	v_and_or_b32 v68, v33, v227, v32                           // 00000000A5AC: D2010044 0483C721
	v_accvgpr_read_b32 v34, a146                               // 00000000A5B4: D3D84022 18000192
	v_accvgpr_read_b32 v35, a147                               // 00000000A5BC: D3D84023 18000193
	v_mul_f32_e32 v34, s47, v34                                // 00000000A5C4: 0A44442F
	v_mul_f32_e32 v35, s47, v35                                // 00000000A5C8: 0A46462F
	v_cmp_u_f32_e64 s[74:75], v34, v34                         // 00000000A5CC: D048004A 00024522
	v_bfe_u32 v226, v34, 16, 1                                 // 00000000A5D4: D1C800E2 02052122
	v_add3_u32 v226, v34, v226, v229                           // 00000000A5DC: D1FF00E2 0797C522
	v_cndmask_b32_e64 v32, v226, v228, s[74:75]                // 00000000A5E4: D1000020 012BC9E2
	v_lshrrev_b32_e32 v32, 16, v32                             // 00000000A5EC: 20404090
	v_cmp_u_f32_e64 s[74:75], v35, v35                         // 00000000A5F0: D048004A 00024723
	v_bfe_u32 v226, v35, 16, 1                                 // 00000000A5F8: D1C800E2 02052123
	v_add3_u32 v226, v35, v226, v229                           // 00000000A600: D1FF00E2 0797C523
	v_cndmask_b32_e64 v33, v226, v228, s[74:75]                // 00000000A608: D1000021 012BC9E2
	v_and_or_b32 v69, v33, v227, v32                           // 00000000A610: D2010045 0483C721
	v_accvgpr_read_b32 v34, a148                               // 00000000A618: D3D84022 18000194
	v_accvgpr_read_b32 v35, a149                               // 00000000A620: D3D84023 18000195
	v_mul_f32_e32 v34, s47, v34                                // 00000000A628: 0A44442F
	v_mul_f32_e32 v35, s47, v35                                // 00000000A62C: 0A46462F
	v_cmp_u_f32_e64 s[74:75], v34, v34                         // 00000000A630: D048004A 00024522
	v_bfe_u32 v226, v34, 16, 1                                 // 00000000A638: D1C800E2 02052122
	v_add3_u32 v226, v34, v226, v229                           // 00000000A640: D1FF00E2 0797C522
	v_cndmask_b32_e64 v32, v226, v228, s[74:75]                // 00000000A648: D1000020 012BC9E2
	v_lshrrev_b32_e32 v32, 16, v32                             // 00000000A650: 20404090
	v_cmp_u_f32_e64 s[74:75], v35, v35                         // 00000000A654: D048004A 00024723
	v_bfe_u32 v226, v35, 16, 1                                 // 00000000A65C: D1C800E2 02052123
	v_add3_u32 v226, v35, v226, v229                           // 00000000A664: D1FF00E2 0797C523
	v_cndmask_b32_e64 v33, v226, v228, s[74:75]                // 00000000A66C: D1000021 012BC9E2
	v_and_or_b32 v70, v33, v227, v32                           // 00000000A674: D2010046 0483C721
	v_accvgpr_read_b32 v34, a150                               // 00000000A67C: D3D84022 18000196
	v_accvgpr_read_b32 v35, a151                               // 00000000A684: D3D84023 18000197
	v_mul_f32_e32 v34, s47, v34                                // 00000000A68C: 0A44442F
	v_mul_f32_e32 v35, s47, v35                                // 00000000A690: 0A46462F
	v_cmp_u_f32_e64 s[74:75], v34, v34                         // 00000000A694: D048004A 00024522
	v_bfe_u32 v226, v34, 16, 1                                 // 00000000A69C: D1C800E2 02052122
	v_add3_u32 v226, v34, v226, v229                           // 00000000A6A4: D1FF00E2 0797C522
	v_cndmask_b32_e64 v32, v226, v228, s[74:75]                // 00000000A6AC: D1000020 012BC9E2
	v_lshrrev_b32_e32 v32, 16, v32                             // 00000000A6B4: 20404090
	v_cmp_u_f32_e64 s[74:75], v35, v35                         // 00000000A6B8: D048004A 00024723
	v_bfe_u32 v226, v35, 16, 1                                 // 00000000A6C0: D1C800E2 02052123
	v_add3_u32 v226, v35, v226, v229                           // 00000000A6C8: D1FF00E2 0797C523
	v_cndmask_b32_e64 v33, v226, v228, s[74:75]                // 00000000A6D0: D1000021 012BC9E2
	v_and_or_b32 v71, v33, v227, v32                           // 00000000A6D8: D2010047 0483C721
	v_accvgpr_read_b32 v34, a152                               // 00000000A6E0: D3D84022 18000198
	v_accvgpr_read_b32 v35, a153                               // 00000000A6E8: D3D84023 18000199
	v_mul_f32_e32 v34, s47, v34                                // 00000000A6F0: 0A44442F
	v_mul_f32_e32 v35, s47, v35                                // 00000000A6F4: 0A46462F
	v_cmp_u_f32_e64 s[74:75], v34, v34                         // 00000000A6F8: D048004A 00024522
	v_bfe_u32 v226, v34, 16, 1                                 // 00000000A700: D1C800E2 02052122
	v_add3_u32 v226, v34, v226, v229                           // 00000000A708: D1FF00E2 0797C522
	v_cndmask_b32_e64 v32, v226, v228, s[74:75]                // 00000000A710: D1000020 012BC9E2
	v_lshrrev_b32_e32 v32, 16, v32                             // 00000000A718: 20404090
	v_cmp_u_f32_e64 s[74:75], v35, v35                         // 00000000A71C: D048004A 00024723
	v_bfe_u32 v226, v35, 16, 1                                 // 00000000A724: D1C800E2 02052123
	v_add3_u32 v226, v35, v226, v229                           // 00000000A72C: D1FF00E2 0797C523
	v_cndmask_b32_e64 v33, v226, v228, s[74:75]                // 00000000A734: D1000021 012BC9E2
	v_and_or_b32 v72, v33, v227, v32                           // 00000000A73C: D2010048 0483C721
	v_accvgpr_read_b32 v34, a154                               // 00000000A744: D3D84022 1800019A
	v_accvgpr_read_b32 v35, a155                               // 00000000A74C: D3D84023 1800019B
	v_mul_f32_e32 v34, s47, v34                                // 00000000A754: 0A44442F
	v_mul_f32_e32 v35, s47, v35                                // 00000000A758: 0A46462F
	v_cmp_u_f32_e64 s[74:75], v34, v34                         // 00000000A75C: D048004A 00024522
	v_bfe_u32 v226, v34, 16, 1                                 // 00000000A764: D1C800E2 02052122
	v_add3_u32 v226, v34, v226, v229                           // 00000000A76C: D1FF00E2 0797C522
	v_cndmask_b32_e64 v32, v226, v228, s[74:75]                // 00000000A774: D1000020 012BC9E2
	v_lshrrev_b32_e32 v32, 16, v32                             // 00000000A77C: 20404090
	v_cmp_u_f32_e64 s[74:75], v35, v35                         // 00000000A780: D048004A 00024723
	v_bfe_u32 v226, v35, 16, 1                                 // 00000000A788: D1C800E2 02052123
	v_add3_u32 v226, v35, v226, v229                           // 00000000A790: D1FF00E2 0797C523
	v_cndmask_b32_e64 v33, v226, v228, s[74:75]                // 00000000A798: D1000021 012BC9E2
	v_and_or_b32 v73, v33, v227, v32                           // 00000000A7A0: D2010049 0483C721
	v_accvgpr_read_b32 v34, a156                               // 00000000A7A8: D3D84022 1800019C
	v_accvgpr_read_b32 v35, a157                               // 00000000A7B0: D3D84023 1800019D
	v_mul_f32_e32 v34, s47, v34                                // 00000000A7B8: 0A44442F
	v_mul_f32_e32 v35, s47, v35                                // 00000000A7BC: 0A46462F
	v_cmp_u_f32_e64 s[74:75], v34, v34                         // 00000000A7C0: D048004A 00024522
	v_bfe_u32 v226, v34, 16, 1                                 // 00000000A7C8: D1C800E2 02052122
	v_add3_u32 v226, v34, v226, v229                           // 00000000A7D0: D1FF00E2 0797C522
	v_cndmask_b32_e64 v32, v226, v228, s[74:75]                // 00000000A7D8: D1000020 012BC9E2
	v_lshrrev_b32_e32 v32, 16, v32                             // 00000000A7E0: 20404090
	v_cmp_u_f32_e64 s[74:75], v35, v35                         // 00000000A7E4: D048004A 00024723
	v_bfe_u32 v226, v35, 16, 1                                 // 00000000A7EC: D1C800E2 02052123
	v_add3_u32 v226, v35, v226, v229                           // 00000000A7F4: D1FF00E2 0797C523
	v_cndmask_b32_e64 v33, v226, v228, s[74:75]                // 00000000A7FC: D1000021 012BC9E2
	v_and_or_b32 v74, v33, v227, v32                           // 00000000A804: D201004A 0483C721
	v_accvgpr_read_b32 v34, a158                               // 00000000A80C: D3D84022 1800019E
	v_accvgpr_read_b32 v35, a159                               // 00000000A814: D3D84023 1800019F
	v_mul_f32_e32 v34, s47, v34                                // 00000000A81C: 0A44442F
	v_mul_f32_e32 v35, s47, v35                                // 00000000A820: 0A46462F
	v_cmp_u_f32_e64 s[74:75], v34, v34                         // 00000000A824: D048004A 00024522
	v_bfe_u32 v226, v34, 16, 1                                 // 00000000A82C: D1C800E2 02052122
	v_add3_u32 v226, v34, v226, v229                           // 00000000A834: D1FF00E2 0797C522
	v_cndmask_b32_e64 v32, v226, v228, s[74:75]                // 00000000A83C: D1000020 012BC9E2
	v_lshrrev_b32_e32 v32, 16, v32                             // 00000000A844: 20404090
	v_cmp_u_f32_e64 s[74:75], v35, v35                         // 00000000A848: D048004A 00024723
	v_bfe_u32 v226, v35, 16, 1                                 // 00000000A850: D1C800E2 02052123
	v_add3_u32 v226, v35, v226, v229                           // 00000000A858: D1FF00E2 0797C523
	v_cndmask_b32_e64 v33, v226, v228, s[74:75]                // 00000000A860: D1000021 012BC9E2
	v_and_or_b32 v75, v33, v227, v32                           // 00000000A868: D201004B 0483C721
	ds_write_b64 v27, v[68:69] offset:17408                    // 00000000A870: D89A4400 0000441B
	ds_write_b64 v27, v[70:71] offset:17952                    // 00000000A878: D89A4620 0000461B
	ds_write_b64 v27, v[72:73] offset:18496                    // 00000000A880: D89A4840 0000481B
	ds_write_b64 v27, v[74:75] offset:19040                    // 00000000A888: D89A4A60 00004A1B
	s_waitcnt lgkmcnt(0)                                       // 00000000A890: BF8CC07F
	s_barrier                                                  // 00000000A894: BF8A0000
	ds_read_b64 v[68:69], v26 offset:17408                     // 00000000A898: D8EC4400 4400001A
	ds_read_b64 v[70:71], v26 offset:17536                     // 00000000A8A0: D8EC4480 4600001A
	ds_read_b64 v[72:73], v26 offset:17472                     // 00000000A8A8: D8EC4440 4800001A
	ds_read_b64 v[74:75], v26 offset:17600                     // 00000000A8B0: D8EC44C0 4A00001A
	s_waitcnt lgkmcnt(0)                                       // 00000000A8B8: BF8CC07F
	s_mov_b32 s70, s52                                         // 00000000A8BC: BEC60034
	buffer_store_dwordx4 v[68:71], v5, s[36:39], 0 idxen       // 00000000A8C0: E07C2000 80094405
	s_mul_i32 s60, 2, s70                                      // 00000000A8C8: 923C4682
	v_add_u32_e32 v5, s60, v5                                  // 00000000A8CC: 680A0A3C
	buffer_store_dwordx4 v[72:75], v5, s[36:39], 0 idxen       // 00000000A8D0: E07C2000 80094805
	s_mul_i32 s60, 2, s70                                      // 00000000A8D8: 923C4682
	v_add_u32_e32 v5, s60, v5                                  // 00000000A8DC: 680A0A3C
	s_mul_i32 s60, 12, s70                                     // 00000000A8E0: 923C468C
	v_add_u32_e32 v5, s60, v5                                  // 00000000A8E4: 680A0A3C
	s_barrier                                                  // 00000000A8E8: BF8A0000
	s_cmp_ge_i32 3, s73                                        // 00000000A8EC: BF034983
	s_cbranch_scc1 label_1AE1                                  // 00000000A8F0: BF850000

000000000000a8f4 <label_1AE1>:
	v_mov_b32_e32 v34, v178                                    // 00000000A8F4: 7E4403B2
	v_mov_b32_e32 v35, v179                                    // 00000000A8F8: 7E4603B3
	v_cmp_u_f32_e64 s[74:75], v34, v34                         // 00000000A8FC: D048004A 00024522
	v_bfe_u32 v226, v34, 16, 1                                 // 00000000A904: D1C800E2 02052122
	v_add3_u32 v226, v34, v226, v229                           // 00000000A90C: D1FF00E2 0797C522
	v_cndmask_b32_e64 v32, v226, v228, s[74:75]                // 00000000A914: D1000020 012BC9E2
	v_lshrrev_b32_e32 v32, 16, v32                             // 00000000A91C: 20404090
	v_cmp_u_f32_e64 s[74:75], v35, v35                         // 00000000A920: D048004A 00024723
	v_bfe_u32 v226, v35, 16, 1                                 // 00000000A928: D1C800E2 02052123
	v_add3_u32 v226, v35, v226, v229                           // 00000000A930: D1FF00E2 0797C523
	v_cndmask_b32_e64 v33, v226, v228, s[74:75]                // 00000000A938: D1000021 012BC9E2
	v_and_or_b32 v178, v33, v227, v32                          // 00000000A940: D20100B2 0483C721
	v_mov_b32_e32 v34, v180                                    // 00000000A948: 7E4403B4
	v_mov_b32_e32 v35, v181                                    // 00000000A94C: 7E4603B5
	v_cmp_u_f32_e64 s[74:75], v34, v34                         // 00000000A950: D048004A 00024522
	v_bfe_u32 v226, v34, 16, 1                                 // 00000000A958: D1C800E2 02052122
	v_add3_u32 v226, v34, v226, v229                           // 00000000A960: D1FF00E2 0797C522
	v_cndmask_b32_e64 v32, v226, v228, s[74:75]                // 00000000A968: D1000020 012BC9E2
	v_lshrrev_b32_e32 v32, 16, v32                             // 00000000A970: 20404090
	v_cmp_u_f32_e64 s[74:75], v35, v35                         // 00000000A974: D048004A 00024723
	v_bfe_u32 v226, v35, 16, 1                                 // 00000000A97C: D1C800E2 02052123
	v_add3_u32 v226, v35, v226, v229                           // 00000000A984: D1FF00E2 0797C523
	v_cndmask_b32_e64 v33, v226, v228, s[74:75]                // 00000000A98C: D1000021 012BC9E2
	v_and_or_b32 v179, v33, v227, v32                          // 00000000A994: D20100B3 0483C721
	v_mov_b32_e32 v34, v182                                    // 00000000A99C: 7E4403B6
	v_mov_b32_e32 v35, v183                                    // 00000000A9A0: 7E4603B7
	v_cmp_u_f32_e64 s[74:75], v34, v34                         // 00000000A9A4: D048004A 00024522
	v_bfe_u32 v226, v34, 16, 1                                 // 00000000A9AC: D1C800E2 02052122
	v_add3_u32 v226, v34, v226, v229                           // 00000000A9B4: D1FF00E2 0797C522
	v_cndmask_b32_e64 v32, v226, v228, s[74:75]                // 00000000A9BC: D1000020 012BC9E2
	v_lshrrev_b32_e32 v32, 16, v32                             // 00000000A9C4: 20404090
	v_cmp_u_f32_e64 s[74:75], v35, v35                         // 00000000A9C8: D048004A 00024723
	v_bfe_u32 v226, v35, 16, 1                                 // 00000000A9D0: D1C800E2 02052123
	v_add3_u32 v226, v35, v226, v229                           // 00000000A9D8: D1FF00E2 0797C523
	v_cndmask_b32_e64 v33, v226, v228, s[74:75]                // 00000000A9E0: D1000021 012BC9E2
	v_and_or_b32 v180, v33, v227, v32                          // 00000000A9E8: D20100B4 0483C721
	v_mov_b32_e32 v34, v184                                    // 00000000A9F0: 7E4403B8
	v_mov_b32_e32 v35, v185                                    // 00000000A9F4: 7E4603B9
	v_cmp_u_f32_e64 s[74:75], v34, v34                         // 00000000A9F8: D048004A 00024522
	v_bfe_u32 v226, v34, 16, 1                                 // 00000000AA00: D1C800E2 02052122
	v_add3_u32 v226, v34, v226, v229                           // 00000000AA08: D1FF00E2 0797C522
	v_cndmask_b32_e64 v32, v226, v228, s[74:75]                // 00000000AA10: D1000020 012BC9E2
	v_lshrrev_b32_e32 v32, 16, v32                             // 00000000AA18: 20404090
	v_cmp_u_f32_e64 s[74:75], v35, v35                         // 00000000AA1C: D048004A 00024723
	v_bfe_u32 v226, v35, 16, 1                                 // 00000000AA24: D1C800E2 02052123
	v_add3_u32 v226, v35, v226, v229                           // 00000000AA2C: D1FF00E2 0797C523
	v_cndmask_b32_e64 v33, v226, v228, s[74:75]                // 00000000AA34: D1000021 012BC9E2
	v_and_or_b32 v181, v33, v227, v32                          // 00000000AA3C: D20100B5 0483C721
	v_mov_b32_e32 v34, v186                                    // 00000000AA44: 7E4403BA
	v_mov_b32_e32 v35, v187                                    // 00000000AA48: 7E4603BB
	v_cmp_u_f32_e64 s[74:75], v34, v34                         // 00000000AA4C: D048004A 00024522
	v_bfe_u32 v226, v34, 16, 1                                 // 00000000AA54: D1C800E2 02052122
	v_add3_u32 v226, v34, v226, v229                           // 00000000AA5C: D1FF00E2 0797C522
	v_cndmask_b32_e64 v32, v226, v228, s[74:75]                // 00000000AA64: D1000020 012BC9E2
	v_lshrrev_b32_e32 v32, 16, v32                             // 00000000AA6C: 20404090
	v_cmp_u_f32_e64 s[74:75], v35, v35                         // 00000000AA70: D048004A 00024723
	v_bfe_u32 v226, v35, 16, 1                                 // 00000000AA78: D1C800E2 02052123
	v_add3_u32 v226, v35, v226, v229                           // 00000000AA80: D1FF00E2 0797C523
	v_cndmask_b32_e64 v33, v226, v228, s[74:75]                // 00000000AA88: D1000021 012BC9E2
	v_and_or_b32 v182, v33, v227, v32                          // 00000000AA90: D20100B6 0483C721
	v_mov_b32_e32 v34, v188                                    // 00000000AA98: 7E4403BC
	v_mov_b32_e32 v35, v189                                    // 00000000AA9C: 7E4603BD
	v_cmp_u_f32_e64 s[74:75], v34, v34                         // 00000000AAA0: D048004A 00024522
	v_bfe_u32 v226, v34, 16, 1                                 // 00000000AAA8: D1C800E2 02052122
	v_add3_u32 v226, v34, v226, v229                           // 00000000AAB0: D1FF00E2 0797C522
	v_cndmask_b32_e64 v32, v226, v228, s[74:75]                // 00000000AAB8: D1000020 012BC9E2
	v_lshrrev_b32_e32 v32, 16, v32                             // 00000000AAC0: 20404090
	v_cmp_u_f32_e64 s[74:75], v35, v35                         // 00000000AAC4: D048004A 00024723
	v_bfe_u32 v226, v35, 16, 1                                 // 00000000AACC: D1C800E2 02052123
	v_add3_u32 v226, v35, v226, v229                           // 00000000AAD4: D1FF00E2 0797C523
	v_cndmask_b32_e64 v33, v226, v228, s[74:75]                // 00000000AADC: D1000021 012BC9E2
	v_and_or_b32 v183, v33, v227, v32                          // 00000000AAE4: D20100B7 0483C721
	v_mov_b32_e32 v34, v190                                    // 00000000AAEC: 7E4403BE
	v_mov_b32_e32 v35, v191                                    // 00000000AAF0: 7E4603BF
	v_cmp_u_f32_e64 s[74:75], v34, v34                         // 00000000AAF4: D048004A 00024522
	v_bfe_u32 v226, v34, 16, 1                                 // 00000000AAFC: D1C800E2 02052122
	v_add3_u32 v226, v34, v226, v229                           // 00000000AB04: D1FF00E2 0797C522
	v_cndmask_b32_e64 v32, v226, v228, s[74:75]                // 00000000AB0C: D1000020 012BC9E2
	v_lshrrev_b32_e32 v32, 16, v32                             // 00000000AB14: 20404090
	v_cmp_u_f32_e64 s[74:75], v35, v35                         // 00000000AB18: D048004A 00024723
	v_bfe_u32 v226, v35, 16, 1                                 // 00000000AB20: D1C800E2 02052123
	v_add3_u32 v226, v35, v226, v229                           // 00000000AB28: D1FF00E2 0797C523
	v_cndmask_b32_e64 v33, v226, v228, s[74:75]                // 00000000AB30: D1000021 012BC9E2
	v_and_or_b32 v184, v33, v227, v32                          // 00000000AB38: D20100B8 0483C721
	v_mov_b32_e32 v34, v192                                    // 00000000AB40: 7E4403C0
	v_mov_b32_e32 v35, v193                                    // 00000000AB44: 7E4603C1
	v_cmp_u_f32_e64 s[74:75], v34, v34                         // 00000000AB48: D048004A 00024522
	v_bfe_u32 v226, v34, 16, 1                                 // 00000000AB50: D1C800E2 02052122
	v_add3_u32 v226, v34, v226, v229                           // 00000000AB58: D1FF00E2 0797C522
	v_cndmask_b32_e64 v32, v226, v228, s[74:75]                // 00000000AB60: D1000020 012BC9E2
	v_lshrrev_b32_e32 v32, 16, v32                             // 00000000AB68: 20404090
	v_cmp_u_f32_e64 s[74:75], v35, v35                         // 00000000AB6C: D048004A 00024723
	v_bfe_u32 v226, v35, 16, 1                                 // 00000000AB74: D1C800E2 02052123
	v_add3_u32 v226, v35, v226, v229                           // 00000000AB7C: D1FF00E2 0797C523
	v_cndmask_b32_e64 v33, v226, v228, s[74:75]                // 00000000AB84: D1000021 012BC9E2
	v_and_or_b32 v185, v33, v227, v32                          // 00000000AB8C: D20100B9 0483C721
	ds_write_b64 v27, v[178:179]                               // 00000000AB94: D89A0000 0000B21B
	ds_write_b64 v27, v[180:181] offset:544                    // 00000000AB9C: D89A0220 0000B41B
	ds_write_b64 v27, v[182:183] offset:1088                   // 00000000ABA4: D89A0440 0000B61B
	ds_write_b64 v27, v[184:185] offset:1632                   // 00000000ABAC: D89A0660 0000B81B
	s_waitcnt lgkmcnt(0)                                       // 00000000ABB4: BF8CC07F
	s_barrier                                                  // 00000000ABB8: BF8A0000
	ds_read_b64 v[178:179], v26                                // 00000000ABBC: D8EC0000 B200001A
	ds_read_b64 v[180:181], v26 offset:128                     // 00000000ABC4: D8EC0080 B400001A
	ds_read_b64 v[182:183], v26 offset:64                      // 00000000ABCC: D8EC0040 B600001A
	ds_read_b64 v[184:185], v26 offset:192                     // 00000000ABD4: D8EC00C0 B800001A
	s_waitcnt lgkmcnt(0)                                       // 00000000ABDC: BF8CC07F
	s_mov_b32 s70, s53                                         // 00000000ABE0: BEC60035
	buffer_store_dwordx4 v[178:181], v10, s[40:43], 0 idxen    // 00000000ABE4: E07C2000 800AB20A
	s_mul_i32 s60, 2, s70                                      // 00000000ABEC: 923C4682
	v_add_u32_e32 v10, s60, v10                                // 00000000ABF0: 6814143C
	buffer_store_dwordx4 v[182:185], v10, s[40:43], 0 idxen    // 00000000ABF4: E07C2000 800AB60A
	s_mul_i32 s60, 2, s70                                      // 00000000ABFC: 923C4682
	v_add_u32_e32 v10, s60, v10                                // 00000000AC00: 6814143C
	s_mul_i32 s60, 12, s70                                     // 00000000AC04: 923C468C
	v_add_u32_e32 v10, s60, v10                                // 00000000AC08: 6814143C
	s_cmp_ge_i32 1, s73                                        // 00000000AC0C: BF034981
	s_cbranch_scc1 label_1D39                                  // 00000000AC10: BF850190
	v_mov_b32_e32 v34, v194                                    // 00000000AC14: 7E4403C2
	v_mov_b32_e32 v35, v195                                    // 00000000AC18: 7E4603C3
	v_cmp_u_f32_e64 s[74:75], v34, v34                         // 00000000AC1C: D048004A 00024522
	v_bfe_u32 v226, v34, 16, 1                                 // 00000000AC24: D1C800E2 02052122
	v_add3_u32 v226, v34, v226, v229                           // 00000000AC2C: D1FF00E2 0797C522
	v_cndmask_b32_e64 v32, v226, v228, s[74:75]                // 00000000AC34: D1000020 012BC9E2
	v_lshrrev_b32_e32 v32, 16, v32                             // 00000000AC3C: 20404090
	v_cmp_u_f32_e64 s[74:75], v35, v35                         // 00000000AC40: D048004A 00024723
	v_bfe_u32 v226, v35, 16, 1                                 // 00000000AC48: D1C800E2 02052123
	v_add3_u32 v226, v35, v226, v229                           // 00000000AC50: D1FF00E2 0797C523
	v_cndmask_b32_e64 v33, v226, v228, s[74:75]                // 00000000AC58: D1000021 012BC9E2
	v_and_or_b32 v186, v33, v227, v32                          // 00000000AC60: D20100BA 0483C721
	v_mov_b32_e32 v34, v196                                    // 00000000AC68: 7E4403C4
	v_mov_b32_e32 v35, v197                                    // 00000000AC6C: 7E4603C5
	v_cmp_u_f32_e64 s[74:75], v34, v34                         // 00000000AC70: D048004A 00024522
	v_bfe_u32 v226, v34, 16, 1                                 // 00000000AC78: D1C800E2 02052122
	v_add3_u32 v226, v34, v226, v229                           // 00000000AC80: D1FF00E2 0797C522
	v_cndmask_b32_e64 v32, v226, v228, s[74:75]                // 00000000AC88: D1000020 012BC9E2
	v_lshrrev_b32_e32 v32, 16, v32                             // 00000000AC90: 20404090
	v_cmp_u_f32_e64 s[74:75], v35, v35                         // 00000000AC94: D048004A 00024723
	v_bfe_u32 v226, v35, 16, 1                                 // 00000000AC9C: D1C800E2 02052123
	v_add3_u32 v226, v35, v226, v229                           // 00000000ACA4: D1FF00E2 0797C523
	v_cndmask_b32_e64 v33, v226, v228, s[74:75]                // 00000000ACAC: D1000021 012BC9E2
	v_and_or_b32 v187, v33, v227, v32                          // 00000000ACB4: D20100BB 0483C721
	v_mov_b32_e32 v34, v198                                    // 00000000ACBC: 7E4403C6
	v_mov_b32_e32 v35, v199                                    // 00000000ACC0: 7E4603C7
	v_cmp_u_f32_e64 s[74:75], v34, v34                         // 00000000ACC4: D048004A 00024522
	v_bfe_u32 v226, v34, 16, 1                                 // 00000000ACCC: D1C800E2 02052122
	v_add3_u32 v226, v34, v226, v229                           // 00000000ACD4: D1FF00E2 0797C522
	v_cndmask_b32_e64 v32, v226, v228, s[74:75]                // 00000000ACDC: D1000020 012BC9E2
	v_lshrrev_b32_e32 v32, 16, v32                             // 00000000ACE4: 20404090
	v_cmp_u_f32_e64 s[74:75], v35, v35                         // 00000000ACE8: D048004A 00024723
	v_bfe_u32 v226, v35, 16, 1                                 // 00000000ACF0: D1C800E2 02052123
	v_add3_u32 v226, v35, v226, v229                           // 00000000ACF8: D1FF00E2 0797C523
	v_cndmask_b32_e64 v33, v226, v228, s[74:75]                // 00000000AD00: D1000021 012BC9E2
	v_and_or_b32 v188, v33, v227, v32                          // 00000000AD08: D20100BC 0483C721
	v_mov_b32_e32 v34, v200                                    // 00000000AD10: 7E4403C8
	v_mov_b32_e32 v35, v201                                    // 00000000AD14: 7E4603C9
	v_cmp_u_f32_e64 s[74:75], v34, v34                         // 00000000AD18: D048004A 00024522
	v_bfe_u32 v226, v34, 16, 1                                 // 00000000AD20: D1C800E2 02052122
	v_add3_u32 v226, v34, v226, v229                           // 00000000AD28: D1FF00E2 0797C522
	v_cndmask_b32_e64 v32, v226, v228, s[74:75]                // 00000000AD30: D1000020 012BC9E2
	v_lshrrev_b32_e32 v32, 16, v32                             // 00000000AD38: 20404090
	v_cmp_u_f32_e64 s[74:75], v35, v35                         // 00000000AD3C: D048004A 00024723
	v_bfe_u32 v226, v35, 16, 1                                 // 00000000AD44: D1C800E2 02052123
	v_add3_u32 v226, v35, v226, v229                           // 00000000AD4C: D1FF00E2 0797C523
	v_cndmask_b32_e64 v33, v226, v228, s[74:75]                // 00000000AD54: D1000021 012BC9E2
	v_and_or_b32 v189, v33, v227, v32                          // 00000000AD5C: D20100BD 0483C721
	v_mov_b32_e32 v34, v202                                    // 00000000AD64: 7E4403CA
	v_mov_b32_e32 v35, v203                                    // 00000000AD68: 7E4603CB
	v_cmp_u_f32_e64 s[74:75], v34, v34                         // 00000000AD6C: D048004A 00024522
	v_bfe_u32 v226, v34, 16, 1                                 // 00000000AD74: D1C800E2 02052122
	v_add3_u32 v226, v34, v226, v229                           // 00000000AD7C: D1FF00E2 0797C522
	v_cndmask_b32_e64 v32, v226, v228, s[74:75]                // 00000000AD84: D1000020 012BC9E2
	v_lshrrev_b32_e32 v32, 16, v32                             // 00000000AD8C: 20404090
	v_cmp_u_f32_e64 s[74:75], v35, v35                         // 00000000AD90: D048004A 00024723
	v_bfe_u32 v226, v35, 16, 1                                 // 00000000AD98: D1C800E2 02052123
	v_add3_u32 v226, v35, v226, v229                           // 00000000ADA0: D1FF00E2 0797C523
	v_cndmask_b32_e64 v33, v226, v228, s[74:75]                // 00000000ADA8: D1000021 012BC9E2
	v_and_or_b32 v190, v33, v227, v32                          // 00000000ADB0: D20100BE 0483C721
	v_mov_b32_e32 v34, v204                                    // 00000000ADB8: 7E4403CC
	v_mov_b32_e32 v35, v205                                    // 00000000ADBC: 7E4603CD
	v_cmp_u_f32_e64 s[74:75], v34, v34                         // 00000000ADC0: D048004A 00024522
	v_bfe_u32 v226, v34, 16, 1                                 // 00000000ADC8: D1C800E2 02052122
	v_add3_u32 v226, v34, v226, v229                           // 00000000ADD0: D1FF00E2 0797C522
	v_cndmask_b32_e64 v32, v226, v228, s[74:75]                // 00000000ADD8: D1000020 012BC9E2
	v_lshrrev_b32_e32 v32, 16, v32                             // 00000000ADE0: 20404090
	v_cmp_u_f32_e64 s[74:75], v35, v35                         // 00000000ADE4: D048004A 00024723
	v_bfe_u32 v226, v35, 16, 1                                 // 00000000ADEC: D1C800E2 02052123
	v_add3_u32 v226, v35, v226, v229                           // 00000000ADF4: D1FF00E2 0797C523
	v_cndmask_b32_e64 v33, v226, v228, s[74:75]                // 00000000ADFC: D1000021 012BC9E2
	v_and_or_b32 v191, v33, v227, v32                          // 00000000AE04: D20100BF 0483C721
	v_mov_b32_e32 v34, v206                                    // 00000000AE0C: 7E4403CE
	v_mov_b32_e32 v35, v207                                    // 00000000AE10: 7E4603CF
	v_cmp_u_f32_e64 s[74:75], v34, v34                         // 00000000AE14: D048004A 00024522
	v_bfe_u32 v226, v34, 16, 1                                 // 00000000AE1C: D1C800E2 02052122
	v_add3_u32 v226, v34, v226, v229                           // 00000000AE24: D1FF00E2 0797C522
	v_cndmask_b32_e64 v32, v226, v228, s[74:75]                // 00000000AE2C: D1000020 012BC9E2
	v_lshrrev_b32_e32 v32, 16, v32                             // 00000000AE34: 20404090
	v_cmp_u_f32_e64 s[74:75], v35, v35                         // 00000000AE38: D048004A 00024723
	v_bfe_u32 v226, v35, 16, 1                                 // 00000000AE40: D1C800E2 02052123
	v_add3_u32 v226, v35, v226, v229                           // 00000000AE48: D1FF00E2 0797C523
	v_cndmask_b32_e64 v33, v226, v228, s[74:75]                // 00000000AE50: D1000021 012BC9E2
	v_and_or_b32 v192, v33, v227, v32                          // 00000000AE58: D20100C0 0483C721
	v_mov_b32_e32 v34, v208                                    // 00000000AE60: 7E4403D0
	v_mov_b32_e32 v35, v209                                    // 00000000AE64: 7E4603D1
	v_cmp_u_f32_e64 s[74:75], v34, v34                         // 00000000AE68: D048004A 00024522
	v_bfe_u32 v226, v34, 16, 1                                 // 00000000AE70: D1C800E2 02052122
	v_add3_u32 v226, v34, v226, v229                           // 00000000AE78: D1FF00E2 0797C522
	v_cndmask_b32_e64 v32, v226, v228, s[74:75]                // 00000000AE80: D1000020 012BC9E2
	v_lshrrev_b32_e32 v32, 16, v32                             // 00000000AE88: 20404090
	v_cmp_u_f32_e64 s[74:75], v35, v35                         // 00000000AE8C: D048004A 00024723
	v_bfe_u32 v226, v35, 16, 1                                 // 00000000AE94: D1C800E2 02052123
	v_add3_u32 v226, v35, v226, v229                           // 00000000AE9C: D1FF00E2 0797C523
	v_cndmask_b32_e64 v33, v226, v228, s[74:75]                // 00000000AEA4: D1000021 012BC9E2
	v_and_or_b32 v193, v33, v227, v32                          // 00000000AEAC: D20100C1 0483C721
	ds_write_b64 v27, v[186:187] offset:8704                   // 00000000AEB4: D89A2200 0000BA1B
	ds_write_b64 v27, v[188:189] offset:9248                   // 00000000AEBC: D89A2420 0000BC1B
	ds_write_b64 v27, v[190:191] offset:9792                   // 00000000AEC4: D89A2640 0000BE1B
	ds_write_b64 v27, v[192:193] offset:10336                  // 00000000AECC: D89A2860 0000C01B
	s_waitcnt lgkmcnt(0)                                       // 00000000AED4: BF8CC07F
	s_barrier                                                  // 00000000AED8: BF8A0000
	ds_read_b64 v[186:187], v26 offset:8704                    // 00000000AEDC: D8EC2200 BA00001A
	ds_read_b64 v[188:189], v26 offset:8832                    // 00000000AEE4: D8EC2280 BC00001A
	ds_read_b64 v[190:191], v26 offset:8768                    // 00000000AEEC: D8EC2240 BE00001A
	ds_read_b64 v[192:193], v26 offset:8896                    // 00000000AEF4: D8EC22C0 C000001A
	s_waitcnt lgkmcnt(0)                                       // 00000000AEFC: BF8CC07F
	s_mov_b32 s70, s53                                         // 00000000AF00: BEC60035
	buffer_store_dwordx4 v[186:189], v10, s[40:43], 0 idxen    // 00000000AF04: E07C2000 800ABA0A
	s_mul_i32 s60, 2, s70                                      // 00000000AF0C: 923C4682
	v_add_u32_e32 v10, s60, v10                                // 00000000AF10: 6814143C
	buffer_store_dwordx4 v[190:193], v10, s[40:43], 0 idxen    // 00000000AF14: E07C2000 800ABE0A
	s_mul_i32 s60, 2, s70                                      // 00000000AF1C: 923C4682
	v_add_u32_e32 v10, s60, v10                                // 00000000AF20: 6814143C
	s_mul_i32 s60, 12, s70                                     // 00000000AF24: 923C468C
	v_add_u32_e32 v10, s60, v10                                // 00000000AF28: 6814143C
	s_cmp_ge_i32 2, s73                                        // 00000000AF2C: BF034982
	s_cbranch_scc1 label_1D39                                  // 00000000AF30: BF8500C8
	v_mov_b32_e32 v34, v210                                    // 00000000AF34: 7E4403D2
	v_mov_b32_e32 v35, v211                                    // 00000000AF38: 7E4603D3
	v_cmp_u_f32_e64 s[74:75], v34, v34                         // 00000000AF3C: D048004A 00024522
	v_bfe_u32 v226, v34, 16, 1                                 // 00000000AF44: D1C800E2 02052122
	v_add3_u32 v226, v34, v226, v229                           // 00000000AF4C: D1FF00E2 0797C522
	v_cndmask_b32_e64 v32, v226, v228, s[74:75]                // 00000000AF54: D1000020 012BC9E2
	v_lshrrev_b32_e32 v32, 16, v32                             // 00000000AF5C: 20404090
	v_cmp_u_f32_e64 s[74:75], v35, v35                         // 00000000AF60: D048004A 00024723
	v_bfe_u32 v226, v35, 16, 1                                 // 00000000AF68: D1C800E2 02052123
	v_add3_u32 v226, v35, v226, v229                           // 00000000AF70: D1FF00E2 0797C523
	v_cndmask_b32_e64 v33, v226, v228, s[74:75]                // 00000000AF78: D1000021 012BC9E2
	v_and_or_b32 v194, v33, v227, v32                          // 00000000AF80: D20100C2 0483C721
	v_mov_b32_e32 v34, v212                                    // 00000000AF88: 7E4403D4
	v_mov_b32_e32 v35, v213                                    // 00000000AF8C: 7E4603D5
	v_cmp_u_f32_e64 s[74:75], v34, v34                         // 00000000AF90: D048004A 00024522
	v_bfe_u32 v226, v34, 16, 1                                 // 00000000AF98: D1C800E2 02052122
	v_add3_u32 v226, v34, v226, v229                           // 00000000AFA0: D1FF00E2 0797C522
	v_cndmask_b32_e64 v32, v226, v228, s[74:75]                // 00000000AFA8: D1000020 012BC9E2
	v_lshrrev_b32_e32 v32, 16, v32                             // 00000000AFB0: 20404090
	v_cmp_u_f32_e64 s[74:75], v35, v35                         // 00000000AFB4: D048004A 00024723
	v_bfe_u32 v226, v35, 16, 1                                 // 00000000AFBC: D1C800E2 02052123
	v_add3_u32 v226, v35, v226, v229                           // 00000000AFC4: D1FF00E2 0797C523
	v_cndmask_b32_e64 v33, v226, v228, s[74:75]                // 00000000AFCC: D1000021 012BC9E2
	v_and_or_b32 v195, v33, v227, v32                          // 00000000AFD4: D20100C3 0483C721
	v_mov_b32_e32 v34, v214                                    // 00000000AFDC: 7E4403D6
	v_mov_b32_e32 v35, v215                                    // 00000000AFE0: 7E4603D7
	v_cmp_u_f32_e64 s[74:75], v34, v34                         // 00000000AFE4: D048004A 00024522
	v_bfe_u32 v226, v34, 16, 1                                 // 00000000AFEC: D1C800E2 02052122
	v_add3_u32 v226, v34, v226, v229                           // 00000000AFF4: D1FF00E2 0797C522
	v_cndmask_b32_e64 v32, v226, v228, s[74:75]                // 00000000AFFC: D1000020 012BC9E2
	v_lshrrev_b32_e32 v32, 16, v32                             // 00000000B004: 20404090
	v_cmp_u_f32_e64 s[74:75], v35, v35                         // 00000000B008: D048004A 00024723
	v_bfe_u32 v226, v35, 16, 1                                 // 00000000B010: D1C800E2 02052123
	v_add3_u32 v226, v35, v226, v229                           // 00000000B018: D1FF00E2 0797C523
	v_cndmask_b32_e64 v33, v226, v228, s[74:75]                // 00000000B020: D1000021 012BC9E2
	v_and_or_b32 v196, v33, v227, v32                          // 00000000B028: D20100C4 0483C721
	v_mov_b32_e32 v34, v216                                    // 00000000B030: 7E4403D8
	v_mov_b32_e32 v35, v217                                    // 00000000B034: 7E4603D9
	v_cmp_u_f32_e64 s[74:75], v34, v34                         // 00000000B038: D048004A 00024522
	v_bfe_u32 v226, v34, 16, 1                                 // 00000000B040: D1C800E2 02052122
	v_add3_u32 v226, v34, v226, v229                           // 00000000B048: D1FF00E2 0797C522
	v_cndmask_b32_e64 v32, v226, v228, s[74:75]                // 00000000B050: D1000020 012BC9E2
	v_lshrrev_b32_e32 v32, 16, v32                             // 00000000B058: 20404090
	v_cmp_u_f32_e64 s[74:75], v35, v35                         // 00000000B05C: D048004A 00024723
	v_bfe_u32 v226, v35, 16, 1                                 // 00000000B064: D1C800E2 02052123
	v_add3_u32 v226, v35, v226, v229                           // 00000000B06C: D1FF00E2 0797C523
	v_cndmask_b32_e64 v33, v226, v228, s[74:75]                // 00000000B074: D1000021 012BC9E2
	v_and_or_b32 v197, v33, v227, v32                          // 00000000B07C: D20100C5 0483C721
	v_mov_b32_e32 v34, v218                                    // 00000000B084: 7E4403DA
	v_mov_b32_e32 v35, v219                                    // 00000000B088: 7E4603DB
	v_cmp_u_f32_e64 s[74:75], v34, v34                         // 00000000B08C: D048004A 00024522
	v_bfe_u32 v226, v34, 16, 1                                 // 00000000B094: D1C800E2 02052122
	v_add3_u32 v226, v34, v226, v229                           // 00000000B09C: D1FF00E2 0797C522
	v_cndmask_b32_e64 v32, v226, v228, s[74:75]                // 00000000B0A4: D1000020 012BC9E2
	v_lshrrev_b32_e32 v32, 16, v32                             // 00000000B0AC: 20404090
	v_cmp_u_f32_e64 s[74:75], v35, v35                         // 00000000B0B0: D048004A 00024723
	v_bfe_u32 v226, v35, 16, 1                                 // 00000000B0B8: D1C800E2 02052123
	v_add3_u32 v226, v35, v226, v229                           // 00000000B0C0: D1FF00E2 0797C523
	v_cndmask_b32_e64 v33, v226, v228, s[74:75]                // 00000000B0C8: D1000021 012BC9E2
	v_and_or_b32 v198, v33, v227, v32                          // 00000000B0D0: D20100C6 0483C721
	v_mov_b32_e32 v34, v220                                    // 00000000B0D8: 7E4403DC
	v_mov_b32_e32 v35, v221                                    // 00000000B0DC: 7E4603DD
	v_cmp_u_f32_e64 s[74:75], v34, v34                         // 00000000B0E0: D048004A 00024522
	v_bfe_u32 v226, v34, 16, 1                                 // 00000000B0E8: D1C800E2 02052122
	v_add3_u32 v226, v34, v226, v229                           // 00000000B0F0: D1FF00E2 0797C522
	v_cndmask_b32_e64 v32, v226, v228, s[74:75]                // 00000000B0F8: D1000020 012BC9E2
	v_lshrrev_b32_e32 v32, 16, v32                             // 00000000B100: 20404090
	v_cmp_u_f32_e64 s[74:75], v35, v35                         // 00000000B104: D048004A 00024723
	v_bfe_u32 v226, v35, 16, 1                                 // 00000000B10C: D1C800E2 02052123
	v_add3_u32 v226, v35, v226, v229                           // 00000000B114: D1FF00E2 0797C523
	v_cndmask_b32_e64 v33, v226, v228, s[74:75]                // 00000000B11C: D1000021 012BC9E2
	v_and_or_b32 v199, v33, v227, v32                          // 00000000B124: D20100C7 0483C721
	v_mov_b32_e32 v34, v222                                    // 00000000B12C: 7E4403DE
	v_mov_b32_e32 v35, v223                                    // 00000000B130: 7E4603DF
	v_cmp_u_f32_e64 s[74:75], v34, v34                         // 00000000B134: D048004A 00024522
	v_bfe_u32 v226, v34, 16, 1                                 // 00000000B13C: D1C800E2 02052122
	v_add3_u32 v226, v34, v226, v229                           // 00000000B144: D1FF00E2 0797C522
	v_cndmask_b32_e64 v32, v226, v228, s[74:75]                // 00000000B14C: D1000020 012BC9E2
	v_lshrrev_b32_e32 v32, 16, v32                             // 00000000B154: 20404090
	v_cmp_u_f32_e64 s[74:75], v35, v35                         // 00000000B158: D048004A 00024723
	v_bfe_u32 v226, v35, 16, 1                                 // 00000000B160: D1C800E2 02052123
	v_add3_u32 v226, v35, v226, v229                           // 00000000B168: D1FF00E2 0797C523
	v_cndmask_b32_e64 v33, v226, v228, s[74:75]                // 00000000B170: D1000021 012BC9E2
	v_and_or_b32 v200, v33, v227, v32                          // 00000000B178: D20100C8 0483C721
	v_mov_b32_e32 v34, v224                                    // 00000000B180: 7E4403E0
	v_mov_b32_e32 v35, v225                                    // 00000000B184: 7E4603E1
	v_cmp_u_f32_e64 s[74:75], v34, v34                         // 00000000B188: D048004A 00024522
	v_bfe_u32 v226, v34, 16, 1                                 // 00000000B190: D1C800E2 02052122
	v_add3_u32 v226, v34, v226, v229                           // 00000000B198: D1FF00E2 0797C522
	v_cndmask_b32_e64 v32, v226, v228, s[74:75]                // 00000000B1A0: D1000020 012BC9E2
	v_lshrrev_b32_e32 v32, 16, v32                             // 00000000B1A8: 20404090
	v_cmp_u_f32_e64 s[74:75], v35, v35                         // 00000000B1AC: D048004A 00024723
	v_bfe_u32 v226, v35, 16, 1                                 // 00000000B1B4: D1C800E2 02052123
	v_add3_u32 v226, v35, v226, v229                           // 00000000B1BC: D1FF00E2 0797C523
	v_cndmask_b32_e64 v33, v226, v228, s[74:75]                // 00000000B1C4: D1000021 012BC9E2
	v_and_or_b32 v201, v33, v227, v32                          // 00000000B1CC: D20100C9 0483C721
	ds_write_b64 v27, v[194:195] offset:17408                  // 00000000B1D4: D89A4400 0000C21B
	ds_write_b64 v27, v[196:197] offset:17952                  // 00000000B1DC: D89A4620 0000C41B
	ds_write_b64 v27, v[198:199] offset:18496                  // 00000000B1E4: D89A4840 0000C61B
	ds_write_b64 v27, v[200:201] offset:19040                  // 00000000B1EC: D89A4A60 0000C81B
	s_waitcnt lgkmcnt(0)                                       // 00000000B1F4: BF8CC07F
	s_barrier                                                  // 00000000B1F8: BF8A0000
	ds_read_b64 v[194:195], v26 offset:17408                   // 00000000B1FC: D8EC4400 C200001A
	ds_read_b64 v[196:197], v26 offset:17536                   // 00000000B204: D8EC4480 C400001A
	ds_read_b64 v[198:199], v26 offset:17472                   // 00000000B20C: D8EC4440 C600001A
	ds_read_b64 v[200:201], v26 offset:17600                   // 00000000B214: D8EC44C0 C800001A
	s_waitcnt lgkmcnt(0)                                       // 00000000B21C: BF8CC07F
	s_mov_b32 s70, s53                                         // 00000000B220: BEC60035
	buffer_store_dwordx4 v[194:197], v10, s[40:43], 0 idxen    // 00000000B224: E07C2000 800AC20A
	s_mul_i32 s60, 2, s70                                      // 00000000B22C: 923C4682
	v_add_u32_e32 v10, s60, v10                                // 00000000B230: 6814143C
	buffer_store_dwordx4 v[198:201], v10, s[40:43], 0 idxen    // 00000000B234: E07C2000 800AC60A
	s_mul_i32 s60, 2, s70                                      // 00000000B23C: 923C4682
	v_add_u32_e32 v10, s60, v10                                // 00000000B240: 6814143C
	s_mul_i32 s60, 12, s70                                     // 00000000B244: 923C468C
	v_add_u32_e32 v10, s60, v10                                // 00000000B248: 6814143C
	s_cmp_ge_i32 3, s73                                        // 00000000B24C: BF034983
	s_cbranch_scc1 label_1D39                                  // 00000000B250: BF850000

000000000000b254 <label_1D39>:
	s_waitcnt vmcnt(0) expcnt(0) lgkmcnt(0)                    // 00000000B254: BF8C0000
	s_endpgm                                                   // 00000000B258: BF810000
